;; amdgpu-corpus repo=ROCm/rocm-examples kind=compiled arch=gfx950 opt=O3
	.amdgcn_target "amdgcn-amd-amdhsa--gfx950"
	.amdhsa_code_object_version 6
	.section	.text._Z14transposeNaiveIiEvPT_PKS0_m,"axG",@progbits,_Z14transposeNaiveIiEvPT_PKS0_m,comdat
	.protected	_Z14transposeNaiveIiEvPT_PKS0_m ; -- Begin function _Z14transposeNaiveIiEvPT_PKS0_m
	.globl	_Z14transposeNaiveIiEvPT_PKS0_m
	.p2align	8
	.type	_Z14transposeNaiveIiEvPT_PKS0_m,@function
_Z14transposeNaiveIiEvPT_PKS0_m:        ; @_Z14transposeNaiveIiEvPT_PKS0_m
; %bb.0:
	v_bfe_u32 v2, v0, 10, 10
	v_cmp_gt_u32_e32 vcc, 64, v2
	s_and_saveexec_b64 s[4:5], vcc
	s_cbranch_execz .LBB0_3
; %bb.1:
	s_load_dwordx4 s[4:7], s[0:1], 0x0
	s_load_dwordx2 s[8:9], s[0:1], 0x10
	s_load_dword s12, s[0:1], 0x24
	v_and_b32_e32 v0, 0x3ff, v0
	v_lshl_add_u32 v4, s2, 6, v0
	s_mov_b32 s11, 0
	s_waitcnt lgkmcnt(0)
	v_mad_u64_u32 v[0:1], s[0:1], s8, v4, 0
	v_mov_b32_e32 v6, v1
	v_mov_b32_e32 v5, 0
	s_lshl_b32 s10, s3, 6
	v_mad_u64_u32 v[6:7], s[0:1], s9, v4, v[6:7]
	v_mov_b32_e32 v3, v5
	v_mov_b32_e32 v1, v6
	s_lshr_b32 s0, s12, 16
	v_lshlrev_b32_e32 v6, 2, v2
	v_mov_b32_e32 v7, v5
	s_lshl_b64 s[2:3], s[10:11], 2
	v_lshl_add_u64 v[0:1], v[0:1], 2, v[6:7]
	s_add_u32 s2, s4, s2
	v_lshl_add_u64 v[6:7], v[2:3], 0, s[10:11]
	s_addc_u32 s3, s5, s3
	v_mul_lo_u32 v8, s9, v6
	v_mul_lo_u32 v9, s8, v7
	v_mad_u64_u32 v[6:7], s[4:5], s8, v6, 0
	v_add3_u32 v7, v7, v9, v8
	v_lshlrev_b64 v[4:5], 2, v[4:5]
	s_mul_i32 s4, s9, s0
	s_mul_hi_u32 s5, s8, s0
	v_lshl_add_u64 v[4:5], v[6:7], 2, v[4:5]
	s_add_i32 s5, s5, s4
	s_mul_i32 s4, s8, s0
	s_mov_b32 s1, s11
	v_lshl_add_u64 v[0:1], s[2:3], 0, v[0:1]
	s_lshl_b32 s2, s0, 2
	s_mov_b32 s3, s11
	v_lshl_add_u64 v[4:5], s[6:7], 0, v[4:5]
	s_lshl_b64 s[4:5], s[4:5], 2
	s_mov_b64 s[6:7], 0
.LBB0_2:                                ; =>This Inner Loop Header: Depth=1
	global_load_dword v6, v[4:5], off
	v_lshl_add_u64 v[2:3], v[2:3], 0, s[0:1]
	v_cmp_lt_u64_e32 vcc, 63, v[2:3]
	v_lshl_add_u64 v[4:5], v[4:5], 0, s[4:5]
	s_or_b64 s[6:7], vcc, s[6:7]
	s_waitcnt vmcnt(0)
	global_store_dword v[0:1], v6, off
	v_lshl_add_u64 v[0:1], v[0:1], 0, s[2:3]
	s_andn2_b64 exec, exec, s[6:7]
	s_cbranch_execnz .LBB0_2
.LBB0_3:
	s_endpgm
	.section	.rodata,"a",@progbits
	.p2align	6, 0x0
	.amdhsa_kernel _Z14transposeNaiveIiEvPT_PKS0_m
		.amdhsa_group_segment_fixed_size 0
		.amdhsa_private_segment_fixed_size 0
		.amdhsa_kernarg_size 280
		.amdhsa_user_sgpr_count 2
		.amdhsa_user_sgpr_dispatch_ptr 0
		.amdhsa_user_sgpr_queue_ptr 0
		.amdhsa_user_sgpr_kernarg_segment_ptr 1
		.amdhsa_user_sgpr_dispatch_id 0
		.amdhsa_user_sgpr_kernarg_preload_length 0
		.amdhsa_user_sgpr_kernarg_preload_offset 0
		.amdhsa_user_sgpr_private_segment_size 0
		.amdhsa_uses_dynamic_stack 0
		.amdhsa_enable_private_segment 0
		.amdhsa_system_sgpr_workgroup_id_x 1
		.amdhsa_system_sgpr_workgroup_id_y 1
		.amdhsa_system_sgpr_workgroup_id_z 0
		.amdhsa_system_sgpr_workgroup_info 0
		.amdhsa_system_vgpr_workitem_id 1
		.amdhsa_next_free_vgpr 10
		.amdhsa_next_free_sgpr 13
		.amdhsa_accum_offset 12
		.amdhsa_reserve_vcc 1
		.amdhsa_float_round_mode_32 0
		.amdhsa_float_round_mode_16_64 0
		.amdhsa_float_denorm_mode_32 3
		.amdhsa_float_denorm_mode_16_64 3
		.amdhsa_dx10_clamp 1
		.amdhsa_ieee_mode 1
		.amdhsa_fp16_overflow 0
		.amdhsa_tg_split 0
		.amdhsa_exception_fp_ieee_invalid_op 0
		.amdhsa_exception_fp_denorm_src 0
		.amdhsa_exception_fp_ieee_div_zero 0
		.amdhsa_exception_fp_ieee_overflow 0
		.amdhsa_exception_fp_ieee_underflow 0
		.amdhsa_exception_fp_ieee_inexact 0
		.amdhsa_exception_int_div_zero 0
	.end_amdhsa_kernel
	.section	.text._Z14transposeNaiveIiEvPT_PKS0_m,"axG",@progbits,_Z14transposeNaiveIiEvPT_PKS0_m,comdat
.Lfunc_end0:
	.size	_Z14transposeNaiveIiEvPT_PKS0_m, .Lfunc_end0-_Z14transposeNaiveIiEvPT_PKS0_m
                                        ; -- End function
	.set _Z14transposeNaiveIiEvPT_PKS0_m.num_vgpr, 10
	.set _Z14transposeNaiveIiEvPT_PKS0_m.num_agpr, 0
	.set _Z14transposeNaiveIiEvPT_PKS0_m.numbered_sgpr, 13
	.set _Z14transposeNaiveIiEvPT_PKS0_m.num_named_barrier, 0
	.set _Z14transposeNaiveIiEvPT_PKS0_m.private_seg_size, 0
	.set _Z14transposeNaiveIiEvPT_PKS0_m.uses_vcc, 1
	.set _Z14transposeNaiveIiEvPT_PKS0_m.uses_flat_scratch, 0
	.set _Z14transposeNaiveIiEvPT_PKS0_m.has_dyn_sized_stack, 0
	.set _Z14transposeNaiveIiEvPT_PKS0_m.has_recursion, 0
	.set _Z14transposeNaiveIiEvPT_PKS0_m.has_indirect_call, 0
	.section	.AMDGPU.csdata,"",@progbits
; Kernel info:
; codeLenInByte = 308
; TotalNumSgprs: 19
; NumVgprs: 10
; NumAgprs: 0
; TotalNumVgprs: 10
; ScratchSize: 0
; MemoryBound: 0
; FloatMode: 240
; IeeeMode: 1
; LDSByteSize: 0 bytes/workgroup (compile time only)
; SGPRBlocks: 2
; VGPRBlocks: 1
; NumSGPRsForWavesPerEU: 19
; NumVGPRsForWavesPerEU: 10
; AccumOffset: 12
; Occupancy: 8
; WaveLimiterHint : 0
; COMPUTE_PGM_RSRC2:SCRATCH_EN: 0
; COMPUTE_PGM_RSRC2:USER_SGPR: 2
; COMPUTE_PGM_RSRC2:TRAP_HANDLER: 0
; COMPUTE_PGM_RSRC2:TGID_X_EN: 1
; COMPUTE_PGM_RSRC2:TGID_Y_EN: 1
; COMPUTE_PGM_RSRC2:TGID_Z_EN: 0
; COMPUTE_PGM_RSRC2:TIDIG_COMP_CNT: 1
; COMPUTE_PGM_RSRC3_GFX90A:ACCUM_OFFSET: 2
; COMPUTE_PGM_RSRC3_GFX90A:TG_SPLIT: 0
	.section	.text._Z27transposeLdsNoBankConflictsIiEvPT_PKS0_m,"axG",@progbits,_Z27transposeLdsNoBankConflictsIiEvPT_PKS0_m,comdat
	.protected	_Z27transposeLdsNoBankConflictsIiEvPT_PKS0_m ; -- Begin function _Z27transposeLdsNoBankConflictsIiEvPT_PKS0_m
	.globl	_Z27transposeLdsNoBankConflictsIiEvPT_PKS0_m
	.p2align	8
	.type	_Z27transposeLdsNoBankConflictsIiEvPT_PKS0_m,@function
_Z27transposeLdsNoBankConflictsIiEvPT_PKS0_m: ; @_Z27transposeLdsNoBankConflictsIiEvPT_PKS0_m
; %bb.0:
	s_load_dwordx4 s[4:7], s[0:1], 0x0
	s_load_dwordx2 s[8:9], s[0:1], 0x10
	s_load_dword s10, s[0:1], 0x24
	s_lshl_b32 s18, s3, 6
	v_bfe_u32 v5, v0, 10, 10
	v_add_u32_e32 v9, s18, v5
	v_and_b32_e32 v4, 0x3ff, v0
	s_waitcnt lgkmcnt(0)
	v_mad_u64_u32 v[0:1], s[0:1], s8, v9, 0
	v_mov_b32_e32 v8, v1
	v_mad_u64_u32 v[8:9], s[0:1], s9, v9, v[8:9]
	v_mov_b32_e32 v2, s6
	v_mov_b32_e32 v3, s7
	s_lshl_b32 s17, s2, 6
	v_mov_b32_e32 v1, v8
	s_lshr_b32 s14, s10, 16
	v_add_u32_e32 v6, s17, v4
	v_mov_b32_e32 v7, 0
	v_lshl_add_u64 v[0:1], v[0:1], 2, v[2:3]
	v_lshlrev_b32_e32 v2, 2, v4
	s_movk_i32 s0, 0x104
	s_cmp_lg_u32 s14, 1
	v_lshl_add_u64 v[0:1], v[6:7], 2, v[0:1]
	v_mad_u32_u24 v6, v5, s0, v2
	s_mov_b64 s[6:7], -1
	s_cselect_b64 s[2:3], -1, 0
	s_cmp_eq_u32 s14, 1
	s_mul_i32 s15, s9, s14
	s_mul_hi_u32 s16, s8, s14
	s_mul_i32 s0, s8, s14
	s_cbranch_scc1 .LBB1_4
; %bb.1:
	s_add_i32 s1, s16, s15
	s_lshl_b64 s[6:7], s[0:1], 2
	s_mul_i32 s1, s14, 0x104
	s_mov_b64 s[10:11], 0
	v_mov_b32_e32 v7, v6
	v_mov_b64_e32 v[2:3], v[0:1]
.LBB1_2:                                ; =>This Inner Loop Header: Depth=1
	global_load_dword v8, v[2:3], off
	s_add_u32 s10, s10, s14
	s_addc_u32 s11, s11, 0
	v_cmp_gt_u64_e64 s[12:13], s[10:11], 63
	v_lshl_add_u64 v[2:3], v[2:3], 0, s[6:7]
	s_and_b64 vcc, exec, s[12:13]
	s_waitcnt vmcnt(0)
	ds_write_b32 v7, v8
	v_add_u32_e32 v7, s1, v7
	s_cbranch_vccz .LBB1_2
; %bb.3:
	s_mov_b64 s[6:7], 0
.LBB1_4:
	s_and_b64 vcc, exec, s[6:7]
	s_cbranch_vccz .LBB1_7
; %bb.5:
	s_mov_b32 s1, s8
	s_mov_b32 s19, s9
	s_mov_b64 s[6:7], 1
	s_mov_b64 s[10:11], 0
	;; [unrolled: 1-line block ×3, first 2 shown]
.LBB1_6:                                ; =>This Inner Loop Header: Depth=1
	s_mul_i32 s21, s6, s19
	s_mul_hi_u32 s23, s6, s1
	s_mul_i32 s25, s10, s9
	s_mul_hi_u32 s26, s10, s8
	s_mul_i32 s24, s7, s1
	s_mul_i32 s27, s11, s8
	s_add_i32 s21, s23, s21
	s_add_i32 s23, s26, s25
	;; [unrolled: 1-line block ×4, first 2 shown]
	s_mul_i32 s20, s6, s1
	s_add_u32 s24, s10, 2
	s_mul_i32 s22, s10, s8
	v_lshl_add_u64 v[8:9], s[20:21], 2, v[0:1]
	s_addc_u32 s21, s11, 0
	v_lshl_add_u64 v[2:3], s[22:23], 2, v[0:1]
	s_mul_i32 s23, s24, s9
	s_mul_hi_u32 s25, s24, s8
	s_add_u32 s26, s6, 2
	s_mul_i32 s21, s21, s8
	s_addc_u32 s27, s7, 0
	s_mul_i32 s28, s26, s19
	s_mul_hi_u32 s29, s26, s1
	s_add_i32 s23, s25, s23
	s_mul_i32 s20, s24, s8
	s_add_i32 s25, s29, s28
	s_mul_i32 s27, s27, s1
	s_add_i32 s21, s23, s21
	global_load_dword v7, v[2:3], off
	global_load_dword v10, v[8:9], off
	s_mul_i32 s22, s26, s1
	s_add_i32 s23, s25, s27
	v_lshl_add_u64 v[2:3], s[20:21], 2, v[0:1]
	v_lshl_add_u64 v[8:9], s[22:23], 2, v[0:1]
	global_load_dword v11, v[2:3], off
	global_load_dword v12, v[8:9], off
	s_mul_i32 s20, s10, 0x104
	s_add_u32 s10, s10, 4
	s_addc_u32 s11, s11, 0
	s_mul_i32 s21, s6, 0x104
	s_add_u32 s6, s6, 4
	s_addc_u32 s7, s7, 0
	s_add_u32 s12, s12, -4
	s_addc_u32 s13, s13, -1
	v_add_u32_e32 v2, s20, v6
	s_mulk_i32 s24, 0x104
	s_mulk_i32 s26, 0x104
	s_cmp_eq_u64 s[12:13], 0
	v_add_u32_e32 v3, s21, v6
	v_add_u32_e32 v8, s24, v6
	;; [unrolled: 1-line block ×3, first 2 shown]
	s_waitcnt vmcnt(3)
	ds_write_b32 v2, v7
	s_waitcnt vmcnt(2)
	ds_write_b32 v3, v10
	;; [unrolled: 2-line block ×4, first 2 shown]
	s_cbranch_scc0 .LBB1_6
.LBB1_7:
	v_add_u32_e32 v9, s17, v5
	v_mov_b32_e32 v0, s4
	v_mov_b32_e32 v1, s5
	v_mad_u64_u32 v[6:7], s[4:5], s8, v9, 0
	v_mov_b32_e32 v8, v7
	v_mad_u64_u32 v[8:9], s[4:5], s9, v9, v[8:9]
	v_mov_b32_e32 v7, v8
	v_add_u32_e32 v2, s18, v4
	v_mov_b32_e32 v3, 0
	v_lshlrev_b32_e32 v5, 2, v5
	s_movk_i32 s1, 0x104
	v_lshl_add_u64 v[0:1], v[6:7], 2, v[0:1]
	v_mad_u32_u24 v4, v4, s1, v5
	v_lshl_add_u64 v[0:1], v[2:3], 2, v[0:1]
	s_andn2_b64 vcc, exec, s[2:3]
	s_mov_b64 s[2:3], -1
	s_waitcnt lgkmcnt(0)
	s_barrier
	s_cbranch_vccnz .LBB1_11
; %bb.8:
	s_and_b32 s2, 0xffff, s14
	s_add_i32 s1, s16, s15
	s_lshl_b64 s[0:1], s[0:1], 2
	s_lshl_b32 s4, s2, 2
	s_mov_b64 s[2:3], 0
	v_mov_b32_e32 v5, v4
	v_mov_b64_e32 v[2:3], v[0:1]
.LBB1_9:                                ; =>This Inner Loop Header: Depth=1
	ds_read_b32 v6, v5
	s_add_u32 s2, s2, s14
	s_addc_u32 s3, s3, 0
	v_cmp_gt_u64_e64 s[6:7], s[2:3], 63
	v_add_u32_e32 v5, s4, v5
	s_and_b64 vcc, exec, s[6:7]
	s_waitcnt lgkmcnt(0)
	global_store_dword v[2:3], v6, off
	v_lshl_add_u64 v[2:3], v[2:3], 0, s[0:1]
	s_cbranch_vccz .LBB1_9
; %bb.10:
	s_mov_b64 s[2:3], 0
.LBB1_11:
	s_and_b64 vcc, exec, s[2:3]
	s_cbranch_vccz .LBB1_14
; %bb.12:
	s_mov_b32 s6, s8
	s_mov_b32 s7, s9
	s_mov_b64 s[0:1], 1
	s_mov_b64 s[2:3], 0
	;; [unrolled: 1-line block ×3, first 2 shown]
.LBB1_13:                               ; =>This Inner Loop Header: Depth=1
	s_mul_i32 s11, s0, s7
	s_mul_hi_u32 s13, s0, s6
	s_mul_i32 s15, s2, s9
	s_mul_hi_u32 s16, s2, s8
	s_mul_i32 s14, s1, s6
	s_mul_i32 s17, s3, s8
	s_add_i32 s11, s13, s11
	s_add_i32 s13, s16, s15
	s_mul_i32 s10, s0, s6
	s_add_i32 s11, s11, s14
	s_add_i32 s13, s13, s17
	v_lshl_add_u64 v[10:11], s[10:11], 2, v[0:1]
	s_add_u32 s10, s2, 2
	s_mul_i32 s12, s2, s8
	s_addc_u32 s11, s3, 0
	v_lshl_add_u64 v[8:9], s[12:13], 2, v[0:1]
	s_add_u32 s12, s0, 2
	s_mul_i32 s13, s10, s9
	s_mul_hi_u32 s14, s10, s8
	s_addc_u32 s15, s1, 0
	s_mul_i32 s16, s12, s7
	s_mul_hi_u32 s17, s12, s6
	s_mul_i32 s11, s11, s8
	s_add_i32 s13, s14, s13
	s_add_i32 s14, s17, s16
	s_mul_i32 s15, s15, s6
	s_add_i32 s11, s13, s11
	s_add_i32 s13, s14, s15
	s_add_u32 s2, s2, 4
	s_addc_u32 s3, s3, 0
	ds_read2_b32 v[2:3], v4 offset1:1
	ds_read2_b32 v[6:7], v4 offset0:2 offset1:3
	s_add_u32 s0, s0, 4
	s_addc_u32 s1, s1, 0
	s_add_u32 s4, s4, -4
	s_mul_i32 s10, s10, s8
	s_mul_i32 s12, s12, s6
	s_addc_u32 s5, s5, -1
	v_add_u32_e32 v4, 16, v4
	s_waitcnt lgkmcnt(1)
	global_store_dword v[8:9], v2, off
	global_store_dword v[10:11], v3, off
	v_lshl_add_u64 v[2:3], s[10:11], 2, v[0:1]
	v_lshl_add_u64 v[8:9], s[12:13], 2, v[0:1]
	s_cmp_eq_u64 s[4:5], 0
	s_waitcnt lgkmcnt(0)
	global_store_dword v[2:3], v6, off
	global_store_dword v[8:9], v7, off
	s_cbranch_scc0 .LBB1_13
.LBB1_14:
	s_endpgm
	.section	.rodata,"a",@progbits
	.p2align	6, 0x0
	.amdhsa_kernel _Z27transposeLdsNoBankConflictsIiEvPT_PKS0_m
		.amdhsa_group_segment_fixed_size 16640
		.amdhsa_private_segment_fixed_size 0
		.amdhsa_kernarg_size 280
		.amdhsa_user_sgpr_count 2
		.amdhsa_user_sgpr_dispatch_ptr 0
		.amdhsa_user_sgpr_queue_ptr 0
		.amdhsa_user_sgpr_kernarg_segment_ptr 1
		.amdhsa_user_sgpr_dispatch_id 0
		.amdhsa_user_sgpr_kernarg_preload_length 0
		.amdhsa_user_sgpr_kernarg_preload_offset 0
		.amdhsa_user_sgpr_private_segment_size 0
		.amdhsa_uses_dynamic_stack 0
		.amdhsa_enable_private_segment 0
		.amdhsa_system_sgpr_workgroup_id_x 1
		.amdhsa_system_sgpr_workgroup_id_y 1
		.amdhsa_system_sgpr_workgroup_id_z 0
		.amdhsa_system_sgpr_workgroup_info 0
		.amdhsa_system_vgpr_workitem_id 1
		.amdhsa_next_free_vgpr 13
		.amdhsa_next_free_sgpr 30
		.amdhsa_accum_offset 16
		.amdhsa_reserve_vcc 1
		.amdhsa_float_round_mode_32 0
		.amdhsa_float_round_mode_16_64 0
		.amdhsa_float_denorm_mode_32 3
		.amdhsa_float_denorm_mode_16_64 3
		.amdhsa_dx10_clamp 1
		.amdhsa_ieee_mode 1
		.amdhsa_fp16_overflow 0
		.amdhsa_tg_split 0
		.amdhsa_exception_fp_ieee_invalid_op 0
		.amdhsa_exception_fp_denorm_src 0
		.amdhsa_exception_fp_ieee_div_zero 0
		.amdhsa_exception_fp_ieee_overflow 0
		.amdhsa_exception_fp_ieee_underflow 0
		.amdhsa_exception_fp_ieee_inexact 0
		.amdhsa_exception_int_div_zero 0
	.end_amdhsa_kernel
	.section	.text._Z27transposeLdsNoBankConflictsIiEvPT_PKS0_m,"axG",@progbits,_Z27transposeLdsNoBankConflictsIiEvPT_PKS0_m,comdat
.Lfunc_end1:
	.size	_Z27transposeLdsNoBankConflictsIiEvPT_PKS0_m, .Lfunc_end1-_Z27transposeLdsNoBankConflictsIiEvPT_PKS0_m
                                        ; -- End function
	.set _Z27transposeLdsNoBankConflictsIiEvPT_PKS0_m.num_vgpr, 13
	.set _Z27transposeLdsNoBankConflictsIiEvPT_PKS0_m.num_agpr, 0
	.set _Z27transposeLdsNoBankConflictsIiEvPT_PKS0_m.numbered_sgpr, 30
	.set _Z27transposeLdsNoBankConflictsIiEvPT_PKS0_m.num_named_barrier, 0
	.set _Z27transposeLdsNoBankConflictsIiEvPT_PKS0_m.private_seg_size, 0
	.set _Z27transposeLdsNoBankConflictsIiEvPT_PKS0_m.uses_vcc, 1
	.set _Z27transposeLdsNoBankConflictsIiEvPT_PKS0_m.uses_flat_scratch, 0
	.set _Z27transposeLdsNoBankConflictsIiEvPT_PKS0_m.has_dyn_sized_stack, 0
	.set _Z27transposeLdsNoBankConflictsIiEvPT_PKS0_m.has_recursion, 0
	.set _Z27transposeLdsNoBankConflictsIiEvPT_PKS0_m.has_indirect_call, 0
	.section	.AMDGPU.csdata,"",@progbits
; Kernel info:
; codeLenInByte = 1032
; TotalNumSgprs: 36
; NumVgprs: 13
; NumAgprs: 0
; TotalNumVgprs: 13
; ScratchSize: 0
; MemoryBound: 0
; FloatMode: 240
; IeeeMode: 1
; LDSByteSize: 16640 bytes/workgroup (compile time only)
; SGPRBlocks: 4
; VGPRBlocks: 1
; NumSGPRsForWavesPerEU: 36
; NumVGPRsForWavesPerEU: 13
; AccumOffset: 16
; Occupancy: 8
; WaveLimiterHint : 0
; COMPUTE_PGM_RSRC2:SCRATCH_EN: 0
; COMPUTE_PGM_RSRC2:USER_SGPR: 2
; COMPUTE_PGM_RSRC2:TRAP_HANDLER: 0
; COMPUTE_PGM_RSRC2:TGID_X_EN: 1
; COMPUTE_PGM_RSRC2:TGID_Y_EN: 1
; COMPUTE_PGM_RSRC2:TGID_Z_EN: 0
; COMPUTE_PGM_RSRC2:TIDIG_COMP_CNT: 1
; COMPUTE_PGM_RSRC3_GFX90A:ACCUM_OFFSET: 3
; COMPUTE_PGM_RSRC3_GFX90A:TG_SPLIT: 0
	.section	.text._Z23transposeLdsSwapInplaceIiEvPT_PKS0_m,"axG",@progbits,_Z23transposeLdsSwapInplaceIiEvPT_PKS0_m,comdat
	.protected	_Z23transposeLdsSwapInplaceIiEvPT_PKS0_m ; -- Begin function _Z23transposeLdsSwapInplaceIiEvPT_PKS0_m
	.globl	_Z23transposeLdsSwapInplaceIiEvPT_PKS0_m
	.p2align	8
	.type	_Z23transposeLdsSwapInplaceIiEvPT_PKS0_m,@function
_Z23transposeLdsSwapInplaceIiEvPT_PKS0_m: ; @_Z23transposeLdsSwapInplaceIiEvPT_PKS0_m
; %bb.0:
	s_load_dwordx4 s[8:11], s[0:1], 0x0
	s_load_dwordx2 s[6:7], s[0:1], 0x10
	v_and_b32_e32 v4, 0x3ff, v0
	v_bfe_u32 v0, v0, 10, 10
	v_mov_b32_e32 v3, 0
	s_lshl_b32 s2, s2, 6
	v_mov_b32_e32 v1, v3
	v_lshlrev_b32_e32 v18, 2, v4
	v_cmp_gt_u32_e32 vcc, 64, v0
	s_and_saveexec_b64 s[12:13], vcc
	s_cbranch_execz .LBB2_8
; %bb.1:
	s_load_dword s14, s[0:1], 0x24
	s_lshl_b32 s16, s3, 6
	v_cmp_ne_u32_e64 s[4:5], 63, v0
	v_add_u32_e32 v2, s2, v4
	s_mov_b32 s17, 0
	s_waitcnt lgkmcnt(0)
	s_lshr_b32 s14, s14, 16
	s_and_b32 s14, s14, 0xffff
	s_cmp_eq_u32 s14, 1
	s_cselect_b64 s[18:19], -1, 0
	s_and_b64 s[20:21], s[4:5], s[18:19]
	s_mov_b64 s[4:5], -1
	v_mov_b64_e32 v[10:11], v[0:1]
	s_and_saveexec_b64 s[18:19], s[20:21]
	s_cbranch_execz .LBB2_5
; %bb.2:
	v_sub_co_u32_e64 v6, s[4:5], 64, v0
	v_and_b32_e32 v8, 0x7e, v6
	v_mov_b32_e32 v9, 0
	v_subb_co_u32_e64 v7, s[4:5], 0, 0, s[4:5]
	v_lshl_add_u64 v[10:11], v[2:3], 2, s[10:11]
	s_mov_b32 s20, s16
	s_mov_b32 s21, s17
	s_mov_b32 s15, s6
	s_mov_b32 s24, s7
	v_add_u32_e32 v12, 1, v0
	v_mov_b32_e32 v14, v0
	v_mov_b32_e32 v15, v3
	;; [unrolled: 1-line block ×3, first 2 shown]
	s_mov_b64 s[22:23], 0
	v_mov_b64_e32 v[16:17], v[8:9]
.LBB2_3:                                ; =>This Inner Loop Header: Depth=1
	v_lshl_add_u64 v[20:21], v[14:15], 0, s[16:17]
	v_lshl_add_u64 v[22:23], v[12:13], 0, s[20:21]
	v_mul_lo_u32 v24, v21, s6
	v_mul_lo_u32 v25, v20, s7
	v_mad_u64_u32 v[20:21], s[4:5], v20, s6, 0
	v_mul_lo_u32 v5, v23, s15
	v_mul_lo_u32 v19, v22, s24
	v_mad_u64_u32 v[22:23], s[4:5], v22, s15, 0
	v_add3_u32 v21, v21, v25, v24
	v_add3_u32 v23, v23, v19, v5
	v_lshl_add_u64 v[20:21], v[20:21], 2, v[10:11]
	v_lshl_add_u64 v[22:23], v[22:23], 2, v[10:11]
	global_load_dword v5, v[20:21], off
	global_load_dword v19, v[22:23], off
	v_lshl_add_u64 v[16:17], v[16:17], 0, -2
	v_cmp_eq_u64_e64 s[4:5], 0, v[16:17]
	v_lshl_add_u32 v20, v14, 8, v18
	v_lshl_add_u32 v21, v12, 8, v18
	v_lshl_add_u64 v[12:13], v[12:13], 0, 2
	v_lshl_add_u64 v[14:15], v[14:15], 0, 2
	s_or_b64 s[22:23], s[4:5], s[22:23]
	s_waitcnt vmcnt(1)
	ds_write_b32 v20, v5
	s_waitcnt vmcnt(0)
	ds_write_b32 v21, v19
	s_andn2_b64 exec, exec, s[22:23]
	s_cbranch_execnz .LBB2_3
; %bb.4:
	s_or_b64 exec, exec, s[22:23]
	v_cmp_ne_u64_e64 s[4:5], v[6:7], v[8:9]
	v_add_u32_e32 v10, v8, v0
	v_mov_b32_e32 v11, 0
	s_orn2_b64 s[4:5], s[4:5], exec
.LBB2_5:
	s_or_b64 exec, exec, s[18:19]
	s_and_b64 exec, exec, s[4:5]
	s_cbranch_execz .LBB2_8
; %bb.6:
	v_lshl_add_u64 v[6:7], v[10:11], 0, s[16:17]
	v_mul_lo_u32 v8, s7, v6
	v_mul_lo_u32 v9, s6, v7
	v_mad_u64_u32 v[6:7], s[4:5], s6, v6, 0
	v_add3_u32 v7, v7, v9, v8
	v_lshlrev_b64 v[8:9], 2, v[2:3]
	s_mul_i32 s4, s7, s14
	s_mul_hi_u32 s5, s6, s14
	v_lshl_add_u64 v[6:7], v[6:7], 2, v[8:9]
	s_add_i32 s5, s5, s4
	s_mul_i32 s4, s6, s14
	s_mov_b32 s15, 0
	v_lshl_add_u32 v5, v10, 8, v18
	s_lshl_b32 s18, s14, 8
	v_lshl_add_u64 v[6:7], s[10:11], 0, v[6:7]
	s_lshl_b64 s[10:11], s[4:5], 2
	s_mov_b64 s[16:17], 0
.LBB2_7:                                ; =>This Inner Loop Header: Depth=1
	global_load_dword v2, v[6:7], off
	v_lshl_add_u64 v[10:11], v[10:11], 0, s[14:15]
	v_cmp_lt_u64_e64 s[4:5], 63, v[10:11]
	v_lshl_add_u64 v[6:7], v[6:7], 0, s[10:11]
	s_or_b64 s[16:17], s[4:5], s[16:17]
	s_waitcnt vmcnt(0)
	ds_write_b32 v5, v2
	v_add_u32_e32 v5, s18, v5
	s_andn2_b64 exec, exec, s[16:17]
	s_cbranch_execnz .LBB2_7
.LBB2_8:
	s_or_b64 exec, exec, s[12:13]
	s_waitcnt lgkmcnt(0)
	s_barrier
	s_and_saveexec_b64 s[10:11], vcc
	s_cbranch_execz .LBB2_13
; %bb.9:
	s_load_dword s4, s[0:1], 0x24
	v_mul_u32_u24_e32 v6, 0xfc, v4
	v_lshlrev_b32_e32 v7, 2, v0
	s_mov_b32 s13, 0
	v_mov_b32_e32 v5, 0
	s_waitcnt lgkmcnt(0)
	s_lshr_b32 s12, s4, 16
	v_lshl_add_u32 v2, v0, 8, v18
	s_lshl_b32 s18, s12, 8
	v_add3_u32 v8, v6, v18, v7
	s_lshl_b32 s19, s12, 2
	s_mov_b64 s[14:15], 0
	v_mov_b64_e32 v[6:7], v[0:1]
	s_branch .LBB2_11
.LBB2_10:                               ;   in Loop: Header=BB2_11 Depth=1
	s_or_b64 exec, exec, s[16:17]
	v_lshl_add_u64 v[6:7], v[6:7], 0, s[12:13]
	v_cmp_lt_u64_e64 s[4:5], 63, v[6:7]
	v_add_u32_e32 v2, s18, v2
	s_or_b64 s[14:15], s[4:5], s[14:15]
	v_add_u32_e32 v8, s19, v8
	s_andn2_b64 exec, exec, s[14:15]
	s_cbranch_execz .LBB2_13
.LBB2_11:                               ; =>This Inner Loop Header: Depth=1
	v_cmp_lt_u64_e64 s[4:5], v[6:7], v[4:5]
	s_and_saveexec_b64 s[16:17], s[4:5]
	s_cbranch_execz .LBB2_10
; %bb.12:                               ;   in Loop: Header=BB2_11 Depth=1
	ds_read_b32 v9, v8
	ds_read_b32 v10, v2
	s_waitcnt lgkmcnt(1)
	ds_write_b32 v2, v9
	s_waitcnt lgkmcnt(1)
	ds_write_b32 v8, v10
	s_branch .LBB2_10
.LBB2_13:
	s_or_b64 exec, exec, s[10:11]
	s_waitcnt lgkmcnt(0)
	s_barrier
	s_and_saveexec_b64 s[4:5], vcc
	s_cbranch_execz .LBB2_21
; %bb.14:
	s_load_dword s0, s[0:1], 0x24
	v_cmp_ne_u32_e32 vcc, 63, v0
	v_lshl_add_u32 v6, s3, 6, v4
	s_mov_b32 s3, 0
	v_mov_b32_e32 v7, 0
	s_waitcnt lgkmcnt(0)
	s_lshr_b32 s0, s0, 16
	s_and_b32 s0, s0, 0xffff
	s_cmp_eq_u32 s0, 1
	s_cselect_b64 s[4:5], -1, 0
	s_and_b64 s[12:13], vcc, s[4:5]
	s_mov_b64 s[10:11], -1
	s_and_saveexec_b64 s[4:5], s[12:13]
	s_cbranch_execz .LBB2_18
; %bb.15:
	v_sub_co_u32_e32 v8, vcc, 64, v0
	v_add_u32_e32 v2, 1, v0
	v_mov_b32_e32 v1, v3
	v_mov_b32_e32 v3, v7
	v_subb_co_u32_e64 v9, s[10:11], 0, 0, vcc
	v_and_b32_e32 v10, 0x7e, v8
	v_mov_b32_e32 v11, v7
	v_mov_b64_e32 v[4:5], v[2:3]
	v_lshl_add_u64 v[12:13], v[6:7], 2, s[8:9]
	s_mov_b32 s10, s2
	s_mov_b32 s11, s3
	;; [unrolled: 1-line block ×4, first 2 shown]
	s_mov_b64 s[12:13], 0
	v_mov_b64_e32 v[14:15], v[10:11]
	v_mov_b64_e32 v[2:3], v[0:1]
.LBB2_16:                               ; =>This Inner Loop Header: Depth=1
	v_lshl_add_u32 v1, v2, 8, v18
	v_lshl_add_u32 v19, v4, 8, v18
	ds_read_b32 v1, v1
	ds_read_b32 v19, v19
	v_lshl_add_u64 v[16:17], v[2:3], 0, s[2:3]
	v_lshl_add_u64 v[20:21], v[4:5], 0, s[10:11]
	v_lshl_add_u64 v[14:15], v[14:15], 0, -2
	v_mul_lo_u32 v24, v17, s6
	v_mul_lo_u32 v25, v16, s7
	v_mad_u64_u32 v[16:17], s[16:17], v16, s6, 0
	v_mul_lo_u32 v22, v21, s1
	v_mul_lo_u32 v23, v20, s14
	v_mad_u64_u32 v[20:21], s[16:17], v20, s1, 0
	v_cmp_eq_u64_e32 vcc, 0, v[14:15]
	v_add3_u32 v17, v17, v25, v24
	v_lshl_add_u64 v[4:5], v[4:5], 0, 2
	v_lshl_add_u64 v[2:3], v[2:3], 0, 2
	v_add3_u32 v21, v21, v23, v22
	s_or_b64 s[12:13], vcc, s[12:13]
	v_lshl_add_u64 v[16:17], v[16:17], 2, v[12:13]
	v_lshl_add_u64 v[20:21], v[20:21], 2, v[12:13]
	s_waitcnt lgkmcnt(1)
	global_store_dword v[16:17], v1, off
	s_waitcnt lgkmcnt(0)
	global_store_dword v[20:21], v19, off
	s_andn2_b64 exec, exec, s[12:13]
	s_cbranch_execnz .LBB2_16
; %bb.17:
	s_or_b64 exec, exec, s[12:13]
	v_cmp_ne_u64_e32 vcc, v[8:9], v[10:11]
	v_add_u32_e32 v0, v10, v0
	v_mov_b32_e32 v1, 0
	s_orn2_b64 s[10:11], vcc, exec
.LBB2_18:
	s_or_b64 exec, exec, s[4:5]
	s_and_b64 exec, exec, s[10:11]
	s_cbranch_execz .LBB2_21
; %bb.19:
	v_lshl_add_u64 v[2:3], v[0:1], 0, s[2:3]
	v_mul_lo_u32 v5, s7, v2
	v_mul_lo_u32 v8, s6, v3
	v_mad_u64_u32 v[2:3], s[2:3], s6, v2, 0
	v_add3_u32 v3, v3, v8, v5
	v_lshlrev_b64 v[6:7], 2, v[6:7]
	s_mul_i32 s2, s7, s0
	s_mul_hi_u32 s3, s6, s0
	v_lshl_add_u64 v[2:3], v[2:3], 2, v[6:7]
	s_add_i32 s3, s3, s2
	s_mul_i32 s2, s6, s0
	s_mov_b32 s1, 0
	v_lshl_add_u32 v4, v0, 8, v18
	s_lshl_b32 s10, s0, 8
	v_lshl_add_u64 v[2:3], s[8:9], 0, v[2:3]
	s_lshl_b64 s[2:3], s[2:3], 2
	s_mov_b64 s[4:5], 0
.LBB2_20:                               ; =>This Inner Loop Header: Depth=1
	ds_read_b32 v5, v4
	v_lshl_add_u64 v[0:1], v[0:1], 0, s[0:1]
	v_cmp_lt_u64_e32 vcc, 63, v[0:1]
	v_add_u32_e32 v4, s10, v4
	s_or_b64 s[4:5], vcc, s[4:5]
	s_waitcnt lgkmcnt(0)
	global_store_dword v[2:3], v5, off
	v_lshl_add_u64 v[2:3], v[2:3], 0, s[2:3]
	s_andn2_b64 exec, exec, s[4:5]
	s_cbranch_execnz .LBB2_20
.LBB2_21:
	s_endpgm
	.section	.rodata,"a",@progbits
	.p2align	6, 0x0
	.amdhsa_kernel _Z23transposeLdsSwapInplaceIiEvPT_PKS0_m
		.amdhsa_group_segment_fixed_size 16384
		.amdhsa_private_segment_fixed_size 0
		.amdhsa_kernarg_size 280
		.amdhsa_user_sgpr_count 2
		.amdhsa_user_sgpr_dispatch_ptr 0
		.amdhsa_user_sgpr_queue_ptr 0
		.amdhsa_user_sgpr_kernarg_segment_ptr 1
		.amdhsa_user_sgpr_dispatch_id 0
		.amdhsa_user_sgpr_kernarg_preload_length 0
		.amdhsa_user_sgpr_kernarg_preload_offset 0
		.amdhsa_user_sgpr_private_segment_size 0
		.amdhsa_uses_dynamic_stack 0
		.amdhsa_enable_private_segment 0
		.amdhsa_system_sgpr_workgroup_id_x 1
		.amdhsa_system_sgpr_workgroup_id_y 1
		.amdhsa_system_sgpr_workgroup_id_z 0
		.amdhsa_system_sgpr_workgroup_info 0
		.amdhsa_system_vgpr_workitem_id 1
		.amdhsa_next_free_vgpr 26
		.amdhsa_next_free_sgpr 25
		.amdhsa_accum_offset 28
		.amdhsa_reserve_vcc 1
		.amdhsa_float_round_mode_32 0
		.amdhsa_float_round_mode_16_64 0
		.amdhsa_float_denorm_mode_32 3
		.amdhsa_float_denorm_mode_16_64 3
		.amdhsa_dx10_clamp 1
		.amdhsa_ieee_mode 1
		.amdhsa_fp16_overflow 0
		.amdhsa_tg_split 0
		.amdhsa_exception_fp_ieee_invalid_op 0
		.amdhsa_exception_fp_denorm_src 0
		.amdhsa_exception_fp_ieee_div_zero 0
		.amdhsa_exception_fp_ieee_overflow 0
		.amdhsa_exception_fp_ieee_underflow 0
		.amdhsa_exception_fp_ieee_inexact 0
		.amdhsa_exception_int_div_zero 0
	.end_amdhsa_kernel
	.section	.text._Z23transposeLdsSwapInplaceIiEvPT_PKS0_m,"axG",@progbits,_Z23transposeLdsSwapInplaceIiEvPT_PKS0_m,comdat
.Lfunc_end2:
	.size	_Z23transposeLdsSwapInplaceIiEvPT_PKS0_m, .Lfunc_end2-_Z23transposeLdsSwapInplaceIiEvPT_PKS0_m
                                        ; -- End function
	.set _Z23transposeLdsSwapInplaceIiEvPT_PKS0_m.num_vgpr, 26
	.set _Z23transposeLdsSwapInplaceIiEvPT_PKS0_m.num_agpr, 0
	.set _Z23transposeLdsSwapInplaceIiEvPT_PKS0_m.numbered_sgpr, 25
	.set _Z23transposeLdsSwapInplaceIiEvPT_PKS0_m.num_named_barrier, 0
	.set _Z23transposeLdsSwapInplaceIiEvPT_PKS0_m.private_seg_size, 0
	.set _Z23transposeLdsSwapInplaceIiEvPT_PKS0_m.uses_vcc, 1
	.set _Z23transposeLdsSwapInplaceIiEvPT_PKS0_m.uses_flat_scratch, 0
	.set _Z23transposeLdsSwapInplaceIiEvPT_PKS0_m.has_dyn_sized_stack, 0
	.set _Z23transposeLdsSwapInplaceIiEvPT_PKS0_m.has_recursion, 0
	.set _Z23transposeLdsSwapInplaceIiEvPT_PKS0_m.has_indirect_call, 0
	.section	.AMDGPU.csdata,"",@progbits
; Kernel info:
; codeLenInByte = 1348
; TotalNumSgprs: 31
; NumVgprs: 26
; NumAgprs: 0
; TotalNumVgprs: 26
; ScratchSize: 0
; MemoryBound: 0
; FloatMode: 240
; IeeeMode: 1
; LDSByteSize: 16384 bytes/workgroup (compile time only)
; SGPRBlocks: 3
; VGPRBlocks: 3
; NumSGPRsForWavesPerEU: 31
; NumVGPRsForWavesPerEU: 26
; AccumOffset: 28
; Occupancy: 8
; WaveLimiterHint : 0
; COMPUTE_PGM_RSRC2:SCRATCH_EN: 0
; COMPUTE_PGM_RSRC2:USER_SGPR: 2
; COMPUTE_PGM_RSRC2:TRAP_HANDLER: 0
; COMPUTE_PGM_RSRC2:TGID_X_EN: 1
; COMPUTE_PGM_RSRC2:TGID_Y_EN: 1
; COMPUTE_PGM_RSRC2:TGID_Z_EN: 0
; COMPUTE_PGM_RSRC2:TIDIG_COMP_CNT: 1
; COMPUTE_PGM_RSRC3_GFX90A:ACCUM_OFFSET: 6
; COMPUTE_PGM_RSRC3_GFX90A:TG_SPLIT: 0
	.section	.text._Z14transposeNaiveIfEvPT_PKS0_m,"axG",@progbits,_Z14transposeNaiveIfEvPT_PKS0_m,comdat
	.protected	_Z14transposeNaiveIfEvPT_PKS0_m ; -- Begin function _Z14transposeNaiveIfEvPT_PKS0_m
	.globl	_Z14transposeNaiveIfEvPT_PKS0_m
	.p2align	8
	.type	_Z14transposeNaiveIfEvPT_PKS0_m,@function
_Z14transposeNaiveIfEvPT_PKS0_m:        ; @_Z14transposeNaiveIfEvPT_PKS0_m
; %bb.0:
	v_bfe_u32 v2, v0, 10, 10
	v_cmp_gt_u32_e32 vcc, 64, v2
	s_and_saveexec_b64 s[4:5], vcc
	s_cbranch_execz .LBB3_3
; %bb.1:
	s_load_dwordx4 s[4:7], s[0:1], 0x0
	s_load_dwordx2 s[8:9], s[0:1], 0x10
	s_load_dword s12, s[0:1], 0x24
	v_and_b32_e32 v0, 0x3ff, v0
	v_lshl_add_u32 v4, s2, 6, v0
	s_mov_b32 s11, 0
	s_waitcnt lgkmcnt(0)
	v_mad_u64_u32 v[0:1], s[0:1], s8, v4, 0
	v_mov_b32_e32 v6, v1
	v_mov_b32_e32 v5, 0
	s_lshl_b32 s10, s3, 6
	v_mad_u64_u32 v[6:7], s[0:1], s9, v4, v[6:7]
	v_mov_b32_e32 v3, v5
	v_mov_b32_e32 v1, v6
	s_lshr_b32 s0, s12, 16
	v_lshlrev_b32_e32 v6, 2, v2
	v_mov_b32_e32 v7, v5
	s_lshl_b64 s[2:3], s[10:11], 2
	v_lshl_add_u64 v[0:1], v[0:1], 2, v[6:7]
	s_add_u32 s2, s4, s2
	v_lshl_add_u64 v[6:7], v[2:3], 0, s[10:11]
	s_addc_u32 s3, s5, s3
	v_mul_lo_u32 v8, s9, v6
	v_mul_lo_u32 v9, s8, v7
	v_mad_u64_u32 v[6:7], s[4:5], s8, v6, 0
	v_add3_u32 v7, v7, v9, v8
	v_lshlrev_b64 v[4:5], 2, v[4:5]
	s_mul_i32 s4, s9, s0
	s_mul_hi_u32 s5, s8, s0
	v_lshl_add_u64 v[4:5], v[6:7], 2, v[4:5]
	s_add_i32 s5, s5, s4
	s_mul_i32 s4, s8, s0
	s_mov_b32 s1, s11
	v_lshl_add_u64 v[0:1], s[2:3], 0, v[0:1]
	s_lshl_b32 s2, s0, 2
	s_mov_b32 s3, s11
	v_lshl_add_u64 v[4:5], s[6:7], 0, v[4:5]
	s_lshl_b64 s[4:5], s[4:5], 2
	s_mov_b64 s[6:7], 0
.LBB3_2:                                ; =>This Inner Loop Header: Depth=1
	global_load_dword v6, v[4:5], off
	v_lshl_add_u64 v[2:3], v[2:3], 0, s[0:1]
	v_cmp_lt_u64_e32 vcc, 63, v[2:3]
	v_lshl_add_u64 v[4:5], v[4:5], 0, s[4:5]
	s_or_b64 s[6:7], vcc, s[6:7]
	s_waitcnt vmcnt(0)
	global_store_dword v[0:1], v6, off
	v_lshl_add_u64 v[0:1], v[0:1], 0, s[2:3]
	s_andn2_b64 exec, exec, s[6:7]
	s_cbranch_execnz .LBB3_2
.LBB3_3:
	s_endpgm
	.section	.rodata,"a",@progbits
	.p2align	6, 0x0
	.amdhsa_kernel _Z14transposeNaiveIfEvPT_PKS0_m
		.amdhsa_group_segment_fixed_size 0
		.amdhsa_private_segment_fixed_size 0
		.amdhsa_kernarg_size 280
		.amdhsa_user_sgpr_count 2
		.amdhsa_user_sgpr_dispatch_ptr 0
		.amdhsa_user_sgpr_queue_ptr 0
		.amdhsa_user_sgpr_kernarg_segment_ptr 1
		.amdhsa_user_sgpr_dispatch_id 0
		.amdhsa_user_sgpr_kernarg_preload_length 0
		.amdhsa_user_sgpr_kernarg_preload_offset 0
		.amdhsa_user_sgpr_private_segment_size 0
		.amdhsa_uses_dynamic_stack 0
		.amdhsa_enable_private_segment 0
		.amdhsa_system_sgpr_workgroup_id_x 1
		.amdhsa_system_sgpr_workgroup_id_y 1
		.amdhsa_system_sgpr_workgroup_id_z 0
		.amdhsa_system_sgpr_workgroup_info 0
		.amdhsa_system_vgpr_workitem_id 1
		.amdhsa_next_free_vgpr 10
		.amdhsa_next_free_sgpr 13
		.amdhsa_accum_offset 12
		.amdhsa_reserve_vcc 1
		.amdhsa_float_round_mode_32 0
		.amdhsa_float_round_mode_16_64 0
		.amdhsa_float_denorm_mode_32 3
		.amdhsa_float_denorm_mode_16_64 3
		.amdhsa_dx10_clamp 1
		.amdhsa_ieee_mode 1
		.amdhsa_fp16_overflow 0
		.amdhsa_tg_split 0
		.amdhsa_exception_fp_ieee_invalid_op 0
		.amdhsa_exception_fp_denorm_src 0
		.amdhsa_exception_fp_ieee_div_zero 0
		.amdhsa_exception_fp_ieee_overflow 0
		.amdhsa_exception_fp_ieee_underflow 0
		.amdhsa_exception_fp_ieee_inexact 0
		.amdhsa_exception_int_div_zero 0
	.end_amdhsa_kernel
	.section	.text._Z14transposeNaiveIfEvPT_PKS0_m,"axG",@progbits,_Z14transposeNaiveIfEvPT_PKS0_m,comdat
.Lfunc_end3:
	.size	_Z14transposeNaiveIfEvPT_PKS0_m, .Lfunc_end3-_Z14transposeNaiveIfEvPT_PKS0_m
                                        ; -- End function
	.set _Z14transposeNaiveIfEvPT_PKS0_m.num_vgpr, 10
	.set _Z14transposeNaiveIfEvPT_PKS0_m.num_agpr, 0
	.set _Z14transposeNaiveIfEvPT_PKS0_m.numbered_sgpr, 13
	.set _Z14transposeNaiveIfEvPT_PKS0_m.num_named_barrier, 0
	.set _Z14transposeNaiveIfEvPT_PKS0_m.private_seg_size, 0
	.set _Z14transposeNaiveIfEvPT_PKS0_m.uses_vcc, 1
	.set _Z14transposeNaiveIfEvPT_PKS0_m.uses_flat_scratch, 0
	.set _Z14transposeNaiveIfEvPT_PKS0_m.has_dyn_sized_stack, 0
	.set _Z14transposeNaiveIfEvPT_PKS0_m.has_recursion, 0
	.set _Z14transposeNaiveIfEvPT_PKS0_m.has_indirect_call, 0
	.section	.AMDGPU.csdata,"",@progbits
; Kernel info:
; codeLenInByte = 308
; TotalNumSgprs: 19
; NumVgprs: 10
; NumAgprs: 0
; TotalNumVgprs: 10
; ScratchSize: 0
; MemoryBound: 0
; FloatMode: 240
; IeeeMode: 1
; LDSByteSize: 0 bytes/workgroup (compile time only)
; SGPRBlocks: 2
; VGPRBlocks: 1
; NumSGPRsForWavesPerEU: 19
; NumVGPRsForWavesPerEU: 10
; AccumOffset: 12
; Occupancy: 8
; WaveLimiterHint : 0
; COMPUTE_PGM_RSRC2:SCRATCH_EN: 0
; COMPUTE_PGM_RSRC2:USER_SGPR: 2
; COMPUTE_PGM_RSRC2:TRAP_HANDLER: 0
; COMPUTE_PGM_RSRC2:TGID_X_EN: 1
; COMPUTE_PGM_RSRC2:TGID_Y_EN: 1
; COMPUTE_PGM_RSRC2:TGID_Z_EN: 0
; COMPUTE_PGM_RSRC2:TIDIG_COMP_CNT: 1
; COMPUTE_PGM_RSRC3_GFX90A:ACCUM_OFFSET: 2
; COMPUTE_PGM_RSRC3_GFX90A:TG_SPLIT: 0
	.section	.text._Z27transposeLdsNoBankConflictsIfEvPT_PKS0_m,"axG",@progbits,_Z27transposeLdsNoBankConflictsIfEvPT_PKS0_m,comdat
	.protected	_Z27transposeLdsNoBankConflictsIfEvPT_PKS0_m ; -- Begin function _Z27transposeLdsNoBankConflictsIfEvPT_PKS0_m
	.globl	_Z27transposeLdsNoBankConflictsIfEvPT_PKS0_m
	.p2align	8
	.type	_Z27transposeLdsNoBankConflictsIfEvPT_PKS0_m,@function
_Z27transposeLdsNoBankConflictsIfEvPT_PKS0_m: ; @_Z27transposeLdsNoBankConflictsIfEvPT_PKS0_m
; %bb.0:
	s_load_dwordx4 s[4:7], s[0:1], 0x0
	s_load_dwordx2 s[8:9], s[0:1], 0x10
	s_load_dword s10, s[0:1], 0x24
	s_lshl_b32 s18, s3, 6
	v_bfe_u32 v5, v0, 10, 10
	v_add_u32_e32 v9, s18, v5
	v_and_b32_e32 v4, 0x3ff, v0
	s_waitcnt lgkmcnt(0)
	v_mad_u64_u32 v[0:1], s[0:1], s8, v9, 0
	v_mov_b32_e32 v8, v1
	v_mad_u64_u32 v[8:9], s[0:1], s9, v9, v[8:9]
	v_mov_b32_e32 v2, s6
	v_mov_b32_e32 v3, s7
	s_lshl_b32 s17, s2, 6
	v_mov_b32_e32 v1, v8
	s_lshr_b32 s14, s10, 16
	v_add_u32_e32 v6, s17, v4
	v_mov_b32_e32 v7, 0
	v_lshl_add_u64 v[0:1], v[0:1], 2, v[2:3]
	v_lshlrev_b32_e32 v2, 2, v4
	s_movk_i32 s0, 0x104
	s_cmp_lg_u32 s14, 1
	v_lshl_add_u64 v[0:1], v[6:7], 2, v[0:1]
	v_mad_u32_u24 v6, v5, s0, v2
	s_mov_b64 s[6:7], -1
	s_cselect_b64 s[2:3], -1, 0
	s_cmp_eq_u32 s14, 1
	s_mul_i32 s15, s9, s14
	s_mul_hi_u32 s16, s8, s14
	s_mul_i32 s0, s8, s14
	s_cbranch_scc1 .LBB4_4
; %bb.1:
	s_add_i32 s1, s16, s15
	s_lshl_b64 s[6:7], s[0:1], 2
	s_mul_i32 s1, s14, 0x104
	s_mov_b64 s[10:11], 0
	v_mov_b32_e32 v7, v6
	v_mov_b64_e32 v[2:3], v[0:1]
.LBB4_2:                                ; =>This Inner Loop Header: Depth=1
	global_load_dword v8, v[2:3], off
	s_add_u32 s10, s10, s14
	s_addc_u32 s11, s11, 0
	v_cmp_gt_u64_e64 s[12:13], s[10:11], 63
	v_lshl_add_u64 v[2:3], v[2:3], 0, s[6:7]
	s_and_b64 vcc, exec, s[12:13]
	s_waitcnt vmcnt(0)
	ds_write_b32 v7, v8
	v_add_u32_e32 v7, s1, v7
	s_cbranch_vccz .LBB4_2
; %bb.3:
	s_mov_b64 s[6:7], 0
.LBB4_4:
	s_and_b64 vcc, exec, s[6:7]
	s_cbranch_vccz .LBB4_7
; %bb.5:
	s_mov_b32 s1, s8
	s_mov_b32 s19, s9
	s_mov_b64 s[6:7], 1
	s_mov_b64 s[10:11], 0
	s_mov_b64 s[12:13], 64
.LBB4_6:                                ; =>This Inner Loop Header: Depth=1
	s_mul_i32 s21, s6, s19
	s_mul_hi_u32 s23, s6, s1
	s_mul_i32 s25, s10, s9
	s_mul_hi_u32 s26, s10, s8
	s_mul_i32 s24, s7, s1
	s_mul_i32 s27, s11, s8
	s_add_i32 s21, s23, s21
	s_add_i32 s23, s26, s25
	;; [unrolled: 1-line block ×4, first 2 shown]
	s_mul_i32 s20, s6, s1
	s_add_u32 s24, s10, 2
	s_mul_i32 s22, s10, s8
	v_lshl_add_u64 v[8:9], s[20:21], 2, v[0:1]
	s_addc_u32 s21, s11, 0
	v_lshl_add_u64 v[2:3], s[22:23], 2, v[0:1]
	s_mul_i32 s23, s24, s9
	s_mul_hi_u32 s25, s24, s8
	s_add_u32 s26, s6, 2
	s_mul_i32 s21, s21, s8
	s_addc_u32 s27, s7, 0
	s_mul_i32 s28, s26, s19
	s_mul_hi_u32 s29, s26, s1
	s_add_i32 s23, s25, s23
	s_mul_i32 s20, s24, s8
	s_add_i32 s25, s29, s28
	s_mul_i32 s27, s27, s1
	s_add_i32 s21, s23, s21
	global_load_dword v7, v[2:3], off
	global_load_dword v10, v[8:9], off
	s_mul_i32 s22, s26, s1
	s_add_i32 s23, s25, s27
	v_lshl_add_u64 v[2:3], s[20:21], 2, v[0:1]
	v_lshl_add_u64 v[8:9], s[22:23], 2, v[0:1]
	global_load_dword v11, v[2:3], off
	global_load_dword v12, v[8:9], off
	s_mul_i32 s20, s10, 0x104
	s_add_u32 s10, s10, 4
	s_addc_u32 s11, s11, 0
	s_mul_i32 s21, s6, 0x104
	s_add_u32 s6, s6, 4
	s_addc_u32 s7, s7, 0
	s_add_u32 s12, s12, -4
	s_addc_u32 s13, s13, -1
	v_add_u32_e32 v2, s20, v6
	s_mulk_i32 s24, 0x104
	s_mulk_i32 s26, 0x104
	s_cmp_eq_u64 s[12:13], 0
	v_add_u32_e32 v3, s21, v6
	v_add_u32_e32 v8, s24, v6
	;; [unrolled: 1-line block ×3, first 2 shown]
	s_waitcnt vmcnt(3)
	ds_write_b32 v2, v7
	s_waitcnt vmcnt(2)
	ds_write_b32 v3, v10
	;; [unrolled: 2-line block ×4, first 2 shown]
	s_cbranch_scc0 .LBB4_6
.LBB4_7:
	v_add_u32_e32 v9, s17, v5
	v_mov_b32_e32 v0, s4
	v_mov_b32_e32 v1, s5
	v_mad_u64_u32 v[6:7], s[4:5], s8, v9, 0
	v_mov_b32_e32 v8, v7
	v_mad_u64_u32 v[8:9], s[4:5], s9, v9, v[8:9]
	v_mov_b32_e32 v7, v8
	v_add_u32_e32 v2, s18, v4
	v_mov_b32_e32 v3, 0
	v_lshlrev_b32_e32 v5, 2, v5
	s_movk_i32 s1, 0x104
	v_lshl_add_u64 v[0:1], v[6:7], 2, v[0:1]
	v_mad_u32_u24 v4, v4, s1, v5
	v_lshl_add_u64 v[0:1], v[2:3], 2, v[0:1]
	s_andn2_b64 vcc, exec, s[2:3]
	s_mov_b64 s[2:3], -1
	s_waitcnt lgkmcnt(0)
	s_barrier
	s_cbranch_vccnz .LBB4_11
; %bb.8:
	s_and_b32 s2, 0xffff, s14
	s_add_i32 s1, s16, s15
	s_lshl_b64 s[0:1], s[0:1], 2
	s_lshl_b32 s4, s2, 2
	s_mov_b64 s[2:3], 0
	v_mov_b32_e32 v5, v4
	v_mov_b64_e32 v[2:3], v[0:1]
.LBB4_9:                                ; =>This Inner Loop Header: Depth=1
	ds_read_b32 v6, v5
	s_add_u32 s2, s2, s14
	s_addc_u32 s3, s3, 0
	v_cmp_gt_u64_e64 s[6:7], s[2:3], 63
	v_add_u32_e32 v5, s4, v5
	s_and_b64 vcc, exec, s[6:7]
	s_waitcnt lgkmcnt(0)
	global_store_dword v[2:3], v6, off
	v_lshl_add_u64 v[2:3], v[2:3], 0, s[0:1]
	s_cbranch_vccz .LBB4_9
; %bb.10:
	s_mov_b64 s[2:3], 0
.LBB4_11:
	s_and_b64 vcc, exec, s[2:3]
	s_cbranch_vccz .LBB4_14
; %bb.12:
	s_mov_b32 s6, s8
	s_mov_b32 s7, s9
	s_mov_b64 s[0:1], 1
	s_mov_b64 s[2:3], 0
	;; [unrolled: 1-line block ×3, first 2 shown]
.LBB4_13:                               ; =>This Inner Loop Header: Depth=1
	s_mul_i32 s11, s0, s7
	s_mul_hi_u32 s13, s0, s6
	s_mul_i32 s15, s2, s9
	s_mul_hi_u32 s16, s2, s8
	s_mul_i32 s14, s1, s6
	s_mul_i32 s17, s3, s8
	s_add_i32 s11, s13, s11
	s_add_i32 s13, s16, s15
	s_mul_i32 s10, s0, s6
	s_add_i32 s11, s11, s14
	s_add_i32 s13, s13, s17
	v_lshl_add_u64 v[10:11], s[10:11], 2, v[0:1]
	s_add_u32 s10, s2, 2
	s_mul_i32 s12, s2, s8
	s_addc_u32 s11, s3, 0
	v_lshl_add_u64 v[8:9], s[12:13], 2, v[0:1]
	s_add_u32 s12, s0, 2
	s_mul_i32 s13, s10, s9
	s_mul_hi_u32 s14, s10, s8
	s_addc_u32 s15, s1, 0
	s_mul_i32 s16, s12, s7
	s_mul_hi_u32 s17, s12, s6
	s_mul_i32 s11, s11, s8
	s_add_i32 s13, s14, s13
	s_add_i32 s14, s17, s16
	s_mul_i32 s15, s15, s6
	s_add_i32 s11, s13, s11
	s_add_i32 s13, s14, s15
	s_add_u32 s2, s2, 4
	s_addc_u32 s3, s3, 0
	ds_read2_b32 v[2:3], v4 offset1:1
	ds_read2_b32 v[6:7], v4 offset0:2 offset1:3
	s_add_u32 s0, s0, 4
	s_addc_u32 s1, s1, 0
	s_add_u32 s4, s4, -4
	s_mul_i32 s10, s10, s8
	s_mul_i32 s12, s12, s6
	s_addc_u32 s5, s5, -1
	v_add_u32_e32 v4, 16, v4
	s_waitcnt lgkmcnt(1)
	global_store_dword v[8:9], v2, off
	global_store_dword v[10:11], v3, off
	v_lshl_add_u64 v[2:3], s[10:11], 2, v[0:1]
	v_lshl_add_u64 v[8:9], s[12:13], 2, v[0:1]
	s_cmp_eq_u64 s[4:5], 0
	s_waitcnt lgkmcnt(0)
	global_store_dword v[2:3], v6, off
	global_store_dword v[8:9], v7, off
	s_cbranch_scc0 .LBB4_13
.LBB4_14:
	s_endpgm
	.section	.rodata,"a",@progbits
	.p2align	6, 0x0
	.amdhsa_kernel _Z27transposeLdsNoBankConflictsIfEvPT_PKS0_m
		.amdhsa_group_segment_fixed_size 16640
		.amdhsa_private_segment_fixed_size 0
		.amdhsa_kernarg_size 280
		.amdhsa_user_sgpr_count 2
		.amdhsa_user_sgpr_dispatch_ptr 0
		.amdhsa_user_sgpr_queue_ptr 0
		.amdhsa_user_sgpr_kernarg_segment_ptr 1
		.amdhsa_user_sgpr_dispatch_id 0
		.amdhsa_user_sgpr_kernarg_preload_length 0
		.amdhsa_user_sgpr_kernarg_preload_offset 0
		.amdhsa_user_sgpr_private_segment_size 0
		.amdhsa_uses_dynamic_stack 0
		.amdhsa_enable_private_segment 0
		.amdhsa_system_sgpr_workgroup_id_x 1
		.amdhsa_system_sgpr_workgroup_id_y 1
		.amdhsa_system_sgpr_workgroup_id_z 0
		.amdhsa_system_sgpr_workgroup_info 0
		.amdhsa_system_vgpr_workitem_id 1
		.amdhsa_next_free_vgpr 13
		.amdhsa_next_free_sgpr 30
		.amdhsa_accum_offset 16
		.amdhsa_reserve_vcc 1
		.amdhsa_float_round_mode_32 0
		.amdhsa_float_round_mode_16_64 0
		.amdhsa_float_denorm_mode_32 3
		.amdhsa_float_denorm_mode_16_64 3
		.amdhsa_dx10_clamp 1
		.amdhsa_ieee_mode 1
		.amdhsa_fp16_overflow 0
		.amdhsa_tg_split 0
		.amdhsa_exception_fp_ieee_invalid_op 0
		.amdhsa_exception_fp_denorm_src 0
		.amdhsa_exception_fp_ieee_div_zero 0
		.amdhsa_exception_fp_ieee_overflow 0
		.amdhsa_exception_fp_ieee_underflow 0
		.amdhsa_exception_fp_ieee_inexact 0
		.amdhsa_exception_int_div_zero 0
	.end_amdhsa_kernel
	.section	.text._Z27transposeLdsNoBankConflictsIfEvPT_PKS0_m,"axG",@progbits,_Z27transposeLdsNoBankConflictsIfEvPT_PKS0_m,comdat
.Lfunc_end4:
	.size	_Z27transposeLdsNoBankConflictsIfEvPT_PKS0_m, .Lfunc_end4-_Z27transposeLdsNoBankConflictsIfEvPT_PKS0_m
                                        ; -- End function
	.set _Z27transposeLdsNoBankConflictsIfEvPT_PKS0_m.num_vgpr, 13
	.set _Z27transposeLdsNoBankConflictsIfEvPT_PKS0_m.num_agpr, 0
	.set _Z27transposeLdsNoBankConflictsIfEvPT_PKS0_m.numbered_sgpr, 30
	.set _Z27transposeLdsNoBankConflictsIfEvPT_PKS0_m.num_named_barrier, 0
	.set _Z27transposeLdsNoBankConflictsIfEvPT_PKS0_m.private_seg_size, 0
	.set _Z27transposeLdsNoBankConflictsIfEvPT_PKS0_m.uses_vcc, 1
	.set _Z27transposeLdsNoBankConflictsIfEvPT_PKS0_m.uses_flat_scratch, 0
	.set _Z27transposeLdsNoBankConflictsIfEvPT_PKS0_m.has_dyn_sized_stack, 0
	.set _Z27transposeLdsNoBankConflictsIfEvPT_PKS0_m.has_recursion, 0
	.set _Z27transposeLdsNoBankConflictsIfEvPT_PKS0_m.has_indirect_call, 0
	.section	.AMDGPU.csdata,"",@progbits
; Kernel info:
; codeLenInByte = 1032
; TotalNumSgprs: 36
; NumVgprs: 13
; NumAgprs: 0
; TotalNumVgprs: 13
; ScratchSize: 0
; MemoryBound: 0
; FloatMode: 240
; IeeeMode: 1
; LDSByteSize: 16640 bytes/workgroup (compile time only)
; SGPRBlocks: 4
; VGPRBlocks: 1
; NumSGPRsForWavesPerEU: 36
; NumVGPRsForWavesPerEU: 13
; AccumOffset: 16
; Occupancy: 8
; WaveLimiterHint : 0
; COMPUTE_PGM_RSRC2:SCRATCH_EN: 0
; COMPUTE_PGM_RSRC2:USER_SGPR: 2
; COMPUTE_PGM_RSRC2:TRAP_HANDLER: 0
; COMPUTE_PGM_RSRC2:TGID_X_EN: 1
; COMPUTE_PGM_RSRC2:TGID_Y_EN: 1
; COMPUTE_PGM_RSRC2:TGID_Z_EN: 0
; COMPUTE_PGM_RSRC2:TIDIG_COMP_CNT: 1
; COMPUTE_PGM_RSRC3_GFX90A:ACCUM_OFFSET: 3
; COMPUTE_PGM_RSRC3_GFX90A:TG_SPLIT: 0
	.section	.text._Z23transposeLdsSwapInplaceIfEvPT_PKS0_m,"axG",@progbits,_Z23transposeLdsSwapInplaceIfEvPT_PKS0_m,comdat
	.protected	_Z23transposeLdsSwapInplaceIfEvPT_PKS0_m ; -- Begin function _Z23transposeLdsSwapInplaceIfEvPT_PKS0_m
	.globl	_Z23transposeLdsSwapInplaceIfEvPT_PKS0_m
	.p2align	8
	.type	_Z23transposeLdsSwapInplaceIfEvPT_PKS0_m,@function
_Z23transposeLdsSwapInplaceIfEvPT_PKS0_m: ; @_Z23transposeLdsSwapInplaceIfEvPT_PKS0_m
; %bb.0:
	s_load_dwordx4 s[8:11], s[0:1], 0x0
	s_load_dwordx2 s[6:7], s[0:1], 0x10
	v_and_b32_e32 v4, 0x3ff, v0
	v_bfe_u32 v0, v0, 10, 10
	v_mov_b32_e32 v3, 0
	s_lshl_b32 s2, s2, 6
	v_mov_b32_e32 v1, v3
	v_lshlrev_b32_e32 v18, 2, v4
	v_cmp_gt_u32_e32 vcc, 64, v0
	s_and_saveexec_b64 s[12:13], vcc
	s_cbranch_execz .LBB5_8
; %bb.1:
	s_load_dword s14, s[0:1], 0x24
	s_lshl_b32 s16, s3, 6
	v_cmp_ne_u32_e64 s[4:5], 63, v0
	v_add_u32_e32 v2, s2, v4
	s_mov_b32 s17, 0
	s_waitcnt lgkmcnt(0)
	s_lshr_b32 s14, s14, 16
	s_and_b32 s14, s14, 0xffff
	s_cmp_eq_u32 s14, 1
	s_cselect_b64 s[18:19], -1, 0
	s_and_b64 s[20:21], s[4:5], s[18:19]
	s_mov_b64 s[4:5], -1
	v_mov_b64_e32 v[10:11], v[0:1]
	s_and_saveexec_b64 s[18:19], s[20:21]
	s_cbranch_execz .LBB5_5
; %bb.2:
	v_sub_co_u32_e64 v6, s[4:5], 64, v0
	v_and_b32_e32 v8, 0x7e, v6
	v_mov_b32_e32 v9, 0
	v_subb_co_u32_e64 v7, s[4:5], 0, 0, s[4:5]
	v_lshl_add_u64 v[10:11], v[2:3], 2, s[10:11]
	s_mov_b32 s20, s16
	s_mov_b32 s21, s17
	;; [unrolled: 1-line block ×4, first 2 shown]
	v_add_u32_e32 v12, 1, v0
	v_mov_b32_e32 v14, v0
	v_mov_b32_e32 v15, v3
	;; [unrolled: 1-line block ×3, first 2 shown]
	s_mov_b64 s[22:23], 0
	v_mov_b64_e32 v[16:17], v[8:9]
.LBB5_3:                                ; =>This Inner Loop Header: Depth=1
	v_lshl_add_u64 v[20:21], v[14:15], 0, s[16:17]
	v_lshl_add_u64 v[22:23], v[12:13], 0, s[20:21]
	v_mul_lo_u32 v24, v21, s6
	v_mul_lo_u32 v25, v20, s7
	v_mad_u64_u32 v[20:21], s[4:5], v20, s6, 0
	v_mul_lo_u32 v5, v23, s15
	v_mul_lo_u32 v19, v22, s24
	v_mad_u64_u32 v[22:23], s[4:5], v22, s15, 0
	v_add3_u32 v21, v21, v25, v24
	v_add3_u32 v23, v23, v19, v5
	v_lshl_add_u64 v[20:21], v[20:21], 2, v[10:11]
	v_lshl_add_u64 v[22:23], v[22:23], 2, v[10:11]
	global_load_dword v5, v[20:21], off
	global_load_dword v19, v[22:23], off
	v_lshl_add_u64 v[16:17], v[16:17], 0, -2
	v_cmp_eq_u64_e64 s[4:5], 0, v[16:17]
	v_lshl_add_u32 v20, v14, 8, v18
	v_lshl_add_u32 v21, v12, 8, v18
	v_lshl_add_u64 v[12:13], v[12:13], 0, 2
	v_lshl_add_u64 v[14:15], v[14:15], 0, 2
	s_or_b64 s[22:23], s[4:5], s[22:23]
	s_waitcnt vmcnt(1)
	ds_write_b32 v20, v5
	s_waitcnt vmcnt(0)
	ds_write_b32 v21, v19
	s_andn2_b64 exec, exec, s[22:23]
	s_cbranch_execnz .LBB5_3
; %bb.4:
	s_or_b64 exec, exec, s[22:23]
	v_cmp_ne_u64_e64 s[4:5], v[6:7], v[8:9]
	v_add_u32_e32 v10, v8, v0
	v_mov_b32_e32 v11, 0
	s_orn2_b64 s[4:5], s[4:5], exec
.LBB5_5:
	s_or_b64 exec, exec, s[18:19]
	s_and_b64 exec, exec, s[4:5]
	s_cbranch_execz .LBB5_8
; %bb.6:
	v_lshl_add_u64 v[6:7], v[10:11], 0, s[16:17]
	v_mul_lo_u32 v8, s7, v6
	v_mul_lo_u32 v9, s6, v7
	v_mad_u64_u32 v[6:7], s[4:5], s6, v6, 0
	v_add3_u32 v7, v7, v9, v8
	v_lshlrev_b64 v[8:9], 2, v[2:3]
	s_mul_i32 s4, s7, s14
	s_mul_hi_u32 s5, s6, s14
	v_lshl_add_u64 v[6:7], v[6:7], 2, v[8:9]
	s_add_i32 s5, s5, s4
	s_mul_i32 s4, s6, s14
	s_mov_b32 s15, 0
	v_lshl_add_u32 v5, v10, 8, v18
	s_lshl_b32 s18, s14, 8
	v_lshl_add_u64 v[6:7], s[10:11], 0, v[6:7]
	s_lshl_b64 s[10:11], s[4:5], 2
	s_mov_b64 s[16:17], 0
.LBB5_7:                                ; =>This Inner Loop Header: Depth=1
	global_load_dword v2, v[6:7], off
	v_lshl_add_u64 v[10:11], v[10:11], 0, s[14:15]
	v_cmp_lt_u64_e64 s[4:5], 63, v[10:11]
	v_lshl_add_u64 v[6:7], v[6:7], 0, s[10:11]
	s_or_b64 s[16:17], s[4:5], s[16:17]
	s_waitcnt vmcnt(0)
	ds_write_b32 v5, v2
	v_add_u32_e32 v5, s18, v5
	s_andn2_b64 exec, exec, s[16:17]
	s_cbranch_execnz .LBB5_7
.LBB5_8:
	s_or_b64 exec, exec, s[12:13]
	s_waitcnt lgkmcnt(0)
	s_barrier
	s_and_saveexec_b64 s[10:11], vcc
	s_cbranch_execz .LBB5_13
; %bb.9:
	s_load_dword s4, s[0:1], 0x24
	v_mul_u32_u24_e32 v6, 0xfc, v4
	v_lshlrev_b32_e32 v7, 2, v0
	s_mov_b32 s13, 0
	v_mov_b32_e32 v5, 0
	s_waitcnt lgkmcnt(0)
	s_lshr_b32 s12, s4, 16
	v_lshl_add_u32 v2, v0, 8, v18
	s_lshl_b32 s18, s12, 8
	v_add3_u32 v8, v6, v18, v7
	s_lshl_b32 s19, s12, 2
	s_mov_b64 s[14:15], 0
	v_mov_b64_e32 v[6:7], v[0:1]
	s_branch .LBB5_11
.LBB5_10:                               ;   in Loop: Header=BB5_11 Depth=1
	s_or_b64 exec, exec, s[16:17]
	v_lshl_add_u64 v[6:7], v[6:7], 0, s[12:13]
	v_cmp_lt_u64_e64 s[4:5], 63, v[6:7]
	v_add_u32_e32 v2, s18, v2
	s_or_b64 s[14:15], s[4:5], s[14:15]
	v_add_u32_e32 v8, s19, v8
	s_andn2_b64 exec, exec, s[14:15]
	s_cbranch_execz .LBB5_13
.LBB5_11:                               ; =>This Inner Loop Header: Depth=1
	v_cmp_lt_u64_e64 s[4:5], v[6:7], v[4:5]
	s_and_saveexec_b64 s[16:17], s[4:5]
	s_cbranch_execz .LBB5_10
; %bb.12:                               ;   in Loop: Header=BB5_11 Depth=1
	ds_read_b32 v9, v8
	ds_read_b32 v10, v2
	s_waitcnt lgkmcnt(1)
	ds_write_b32 v2, v9
	s_waitcnt lgkmcnt(1)
	ds_write_b32 v8, v10
	s_branch .LBB5_10
.LBB5_13:
	s_or_b64 exec, exec, s[10:11]
	s_waitcnt lgkmcnt(0)
	s_barrier
	s_and_saveexec_b64 s[4:5], vcc
	s_cbranch_execz .LBB5_21
; %bb.14:
	s_load_dword s0, s[0:1], 0x24
	v_cmp_ne_u32_e32 vcc, 63, v0
	v_lshl_add_u32 v6, s3, 6, v4
	s_mov_b32 s3, 0
	v_mov_b32_e32 v7, 0
	s_waitcnt lgkmcnt(0)
	s_lshr_b32 s0, s0, 16
	s_and_b32 s0, s0, 0xffff
	s_cmp_eq_u32 s0, 1
	s_cselect_b64 s[4:5], -1, 0
	s_and_b64 s[12:13], vcc, s[4:5]
	s_mov_b64 s[10:11], -1
	s_and_saveexec_b64 s[4:5], s[12:13]
	s_cbranch_execz .LBB5_18
; %bb.15:
	v_sub_co_u32_e32 v8, vcc, 64, v0
	v_add_u32_e32 v2, 1, v0
	v_mov_b32_e32 v1, v3
	v_mov_b32_e32 v3, v7
	v_subb_co_u32_e64 v9, s[10:11], 0, 0, vcc
	v_and_b32_e32 v10, 0x7e, v8
	v_mov_b32_e32 v11, v7
	v_mov_b64_e32 v[4:5], v[2:3]
	v_lshl_add_u64 v[12:13], v[6:7], 2, s[8:9]
	s_mov_b32 s10, s2
	s_mov_b32 s11, s3
	s_mov_b32 s1, s6
	s_mov_b32 s14, s7
	s_mov_b64 s[12:13], 0
	v_mov_b64_e32 v[14:15], v[10:11]
	v_mov_b64_e32 v[2:3], v[0:1]
.LBB5_16:                               ; =>This Inner Loop Header: Depth=1
	v_lshl_add_u32 v1, v2, 8, v18
	v_lshl_add_u32 v19, v4, 8, v18
	ds_read_b32 v1, v1
	ds_read_b32 v19, v19
	v_lshl_add_u64 v[16:17], v[2:3], 0, s[2:3]
	v_lshl_add_u64 v[20:21], v[4:5], 0, s[10:11]
	v_lshl_add_u64 v[14:15], v[14:15], 0, -2
	v_mul_lo_u32 v24, v17, s6
	v_mul_lo_u32 v25, v16, s7
	v_mad_u64_u32 v[16:17], s[16:17], v16, s6, 0
	v_mul_lo_u32 v22, v21, s1
	v_mul_lo_u32 v23, v20, s14
	v_mad_u64_u32 v[20:21], s[16:17], v20, s1, 0
	v_cmp_eq_u64_e32 vcc, 0, v[14:15]
	v_add3_u32 v17, v17, v25, v24
	v_lshl_add_u64 v[4:5], v[4:5], 0, 2
	v_lshl_add_u64 v[2:3], v[2:3], 0, 2
	v_add3_u32 v21, v21, v23, v22
	s_or_b64 s[12:13], vcc, s[12:13]
	v_lshl_add_u64 v[16:17], v[16:17], 2, v[12:13]
	v_lshl_add_u64 v[20:21], v[20:21], 2, v[12:13]
	s_waitcnt lgkmcnt(1)
	global_store_dword v[16:17], v1, off
	s_waitcnt lgkmcnt(0)
	global_store_dword v[20:21], v19, off
	s_andn2_b64 exec, exec, s[12:13]
	s_cbranch_execnz .LBB5_16
; %bb.17:
	s_or_b64 exec, exec, s[12:13]
	v_cmp_ne_u64_e32 vcc, v[8:9], v[10:11]
	v_add_u32_e32 v0, v10, v0
	v_mov_b32_e32 v1, 0
	s_orn2_b64 s[10:11], vcc, exec
.LBB5_18:
	s_or_b64 exec, exec, s[4:5]
	s_and_b64 exec, exec, s[10:11]
	s_cbranch_execz .LBB5_21
; %bb.19:
	v_lshl_add_u64 v[2:3], v[0:1], 0, s[2:3]
	v_mul_lo_u32 v5, s7, v2
	v_mul_lo_u32 v8, s6, v3
	v_mad_u64_u32 v[2:3], s[2:3], s6, v2, 0
	v_add3_u32 v3, v3, v8, v5
	v_lshlrev_b64 v[6:7], 2, v[6:7]
	s_mul_i32 s2, s7, s0
	s_mul_hi_u32 s3, s6, s0
	v_lshl_add_u64 v[2:3], v[2:3], 2, v[6:7]
	s_add_i32 s3, s3, s2
	s_mul_i32 s2, s6, s0
	s_mov_b32 s1, 0
	v_lshl_add_u32 v4, v0, 8, v18
	s_lshl_b32 s10, s0, 8
	v_lshl_add_u64 v[2:3], s[8:9], 0, v[2:3]
	s_lshl_b64 s[2:3], s[2:3], 2
	s_mov_b64 s[4:5], 0
.LBB5_20:                               ; =>This Inner Loop Header: Depth=1
	ds_read_b32 v5, v4
	v_lshl_add_u64 v[0:1], v[0:1], 0, s[0:1]
	v_cmp_lt_u64_e32 vcc, 63, v[0:1]
	v_add_u32_e32 v4, s10, v4
	s_or_b64 s[4:5], vcc, s[4:5]
	s_waitcnt lgkmcnt(0)
	global_store_dword v[2:3], v5, off
	v_lshl_add_u64 v[2:3], v[2:3], 0, s[2:3]
	s_andn2_b64 exec, exec, s[4:5]
	s_cbranch_execnz .LBB5_20
.LBB5_21:
	s_endpgm
	.section	.rodata,"a",@progbits
	.p2align	6, 0x0
	.amdhsa_kernel _Z23transposeLdsSwapInplaceIfEvPT_PKS0_m
		.amdhsa_group_segment_fixed_size 16384
		.amdhsa_private_segment_fixed_size 0
		.amdhsa_kernarg_size 280
		.amdhsa_user_sgpr_count 2
		.amdhsa_user_sgpr_dispatch_ptr 0
		.amdhsa_user_sgpr_queue_ptr 0
		.amdhsa_user_sgpr_kernarg_segment_ptr 1
		.amdhsa_user_sgpr_dispatch_id 0
		.amdhsa_user_sgpr_kernarg_preload_length 0
		.amdhsa_user_sgpr_kernarg_preload_offset 0
		.amdhsa_user_sgpr_private_segment_size 0
		.amdhsa_uses_dynamic_stack 0
		.amdhsa_enable_private_segment 0
		.amdhsa_system_sgpr_workgroup_id_x 1
		.amdhsa_system_sgpr_workgroup_id_y 1
		.amdhsa_system_sgpr_workgroup_id_z 0
		.amdhsa_system_sgpr_workgroup_info 0
		.amdhsa_system_vgpr_workitem_id 1
		.amdhsa_next_free_vgpr 26
		.amdhsa_next_free_sgpr 25
		.amdhsa_accum_offset 28
		.amdhsa_reserve_vcc 1
		.amdhsa_float_round_mode_32 0
		.amdhsa_float_round_mode_16_64 0
		.amdhsa_float_denorm_mode_32 3
		.amdhsa_float_denorm_mode_16_64 3
		.amdhsa_dx10_clamp 1
		.amdhsa_ieee_mode 1
		.amdhsa_fp16_overflow 0
		.amdhsa_tg_split 0
		.amdhsa_exception_fp_ieee_invalid_op 0
		.amdhsa_exception_fp_denorm_src 0
		.amdhsa_exception_fp_ieee_div_zero 0
		.amdhsa_exception_fp_ieee_overflow 0
		.amdhsa_exception_fp_ieee_underflow 0
		.amdhsa_exception_fp_ieee_inexact 0
		.amdhsa_exception_int_div_zero 0
	.end_amdhsa_kernel
	.section	.text._Z23transposeLdsSwapInplaceIfEvPT_PKS0_m,"axG",@progbits,_Z23transposeLdsSwapInplaceIfEvPT_PKS0_m,comdat
.Lfunc_end5:
	.size	_Z23transposeLdsSwapInplaceIfEvPT_PKS0_m, .Lfunc_end5-_Z23transposeLdsSwapInplaceIfEvPT_PKS0_m
                                        ; -- End function
	.set _Z23transposeLdsSwapInplaceIfEvPT_PKS0_m.num_vgpr, 26
	.set _Z23transposeLdsSwapInplaceIfEvPT_PKS0_m.num_agpr, 0
	.set _Z23transposeLdsSwapInplaceIfEvPT_PKS0_m.numbered_sgpr, 25
	.set _Z23transposeLdsSwapInplaceIfEvPT_PKS0_m.num_named_barrier, 0
	.set _Z23transposeLdsSwapInplaceIfEvPT_PKS0_m.private_seg_size, 0
	.set _Z23transposeLdsSwapInplaceIfEvPT_PKS0_m.uses_vcc, 1
	.set _Z23transposeLdsSwapInplaceIfEvPT_PKS0_m.uses_flat_scratch, 0
	.set _Z23transposeLdsSwapInplaceIfEvPT_PKS0_m.has_dyn_sized_stack, 0
	.set _Z23transposeLdsSwapInplaceIfEvPT_PKS0_m.has_recursion, 0
	.set _Z23transposeLdsSwapInplaceIfEvPT_PKS0_m.has_indirect_call, 0
	.section	.AMDGPU.csdata,"",@progbits
; Kernel info:
; codeLenInByte = 1348
; TotalNumSgprs: 31
; NumVgprs: 26
; NumAgprs: 0
; TotalNumVgprs: 26
; ScratchSize: 0
; MemoryBound: 0
; FloatMode: 240
; IeeeMode: 1
; LDSByteSize: 16384 bytes/workgroup (compile time only)
; SGPRBlocks: 3
; VGPRBlocks: 3
; NumSGPRsForWavesPerEU: 31
; NumVGPRsForWavesPerEU: 26
; AccumOffset: 28
; Occupancy: 8
; WaveLimiterHint : 0
; COMPUTE_PGM_RSRC2:SCRATCH_EN: 0
; COMPUTE_PGM_RSRC2:USER_SGPR: 2
; COMPUTE_PGM_RSRC2:TRAP_HANDLER: 0
; COMPUTE_PGM_RSRC2:TGID_X_EN: 1
; COMPUTE_PGM_RSRC2:TGID_Y_EN: 1
; COMPUTE_PGM_RSRC2:TGID_Z_EN: 0
; COMPUTE_PGM_RSRC2:TIDIG_COMP_CNT: 1
; COMPUTE_PGM_RSRC3_GFX90A:ACCUM_OFFSET: 6
; COMPUTE_PGM_RSRC3_GFX90A:TG_SPLIT: 0
	.section	.text._Z14transposeNaiveIdEvPT_PKS0_m,"axG",@progbits,_Z14transposeNaiveIdEvPT_PKS0_m,comdat
	.protected	_Z14transposeNaiveIdEvPT_PKS0_m ; -- Begin function _Z14transposeNaiveIdEvPT_PKS0_m
	.globl	_Z14transposeNaiveIdEvPT_PKS0_m
	.p2align	8
	.type	_Z14transposeNaiveIdEvPT_PKS0_m,@function
_Z14transposeNaiveIdEvPT_PKS0_m:        ; @_Z14transposeNaiveIdEvPT_PKS0_m
; %bb.0:
	v_bfe_u32 v2, v0, 10, 10
	v_cmp_gt_u32_e32 vcc, 64, v2
	s_and_saveexec_b64 s[4:5], vcc
	s_cbranch_execz .LBB6_3
; %bb.1:
	s_load_dwordx4 s[4:7], s[0:1], 0x0
	s_load_dwordx2 s[8:9], s[0:1], 0x10
	s_load_dword s12, s[0:1], 0x24
	v_and_b32_e32 v0, 0x3ff, v0
	v_lshl_add_u32 v4, s2, 6, v0
	s_mov_b32 s11, 0
	s_waitcnt lgkmcnt(0)
	v_mad_u64_u32 v[0:1], s[0:1], s8, v4, 0
	v_mov_b32_e32 v6, v1
	v_mov_b32_e32 v5, 0
	s_lshl_b32 s10, s3, 6
	v_mad_u64_u32 v[6:7], s[0:1], s9, v4, v[6:7]
	v_mov_b32_e32 v3, v5
	v_mov_b32_e32 v1, v6
	s_lshr_b32 s0, s12, 16
	v_lshlrev_b32_e32 v6, 3, v2
	v_mov_b32_e32 v7, v5
	s_lshl_b64 s[2:3], s[10:11], 3
	v_lshl_add_u64 v[0:1], v[0:1], 3, v[6:7]
	s_add_u32 s2, s4, s2
	v_lshl_add_u64 v[6:7], v[2:3], 0, s[10:11]
	s_addc_u32 s3, s5, s3
	v_mul_lo_u32 v8, s9, v6
	v_mul_lo_u32 v9, s8, v7
	v_mad_u64_u32 v[6:7], s[4:5], s8, v6, 0
	v_add3_u32 v7, v7, v9, v8
	v_lshlrev_b64 v[4:5], 3, v[4:5]
	s_mul_i32 s4, s9, s0
	s_mul_hi_u32 s5, s8, s0
	v_lshl_add_u64 v[4:5], v[6:7], 3, v[4:5]
	s_add_i32 s5, s5, s4
	s_mul_i32 s4, s8, s0
	s_mov_b32 s1, s11
	v_lshl_add_u64 v[0:1], s[2:3], 0, v[0:1]
	s_lshl_b32 s2, s0, 3
	s_mov_b32 s3, s11
	v_lshl_add_u64 v[4:5], s[6:7], 0, v[4:5]
	s_lshl_b64 s[4:5], s[4:5], 3
	s_mov_b64 s[6:7], 0
.LBB6_2:                                ; =>This Inner Loop Header: Depth=1
	global_load_dwordx2 v[6:7], v[4:5], off
	v_lshl_add_u64 v[2:3], v[2:3], 0, s[0:1]
	v_cmp_lt_u64_e32 vcc, 63, v[2:3]
	v_lshl_add_u64 v[4:5], v[4:5], 0, s[4:5]
	s_or_b64 s[6:7], vcc, s[6:7]
	s_waitcnt vmcnt(0)
	global_store_dwordx2 v[0:1], v[6:7], off
	v_lshl_add_u64 v[0:1], v[0:1], 0, s[2:3]
	s_andn2_b64 exec, exec, s[6:7]
	s_cbranch_execnz .LBB6_2
.LBB6_3:
	s_endpgm
	.section	.rodata,"a",@progbits
	.p2align	6, 0x0
	.amdhsa_kernel _Z14transposeNaiveIdEvPT_PKS0_m
		.amdhsa_group_segment_fixed_size 0
		.amdhsa_private_segment_fixed_size 0
		.amdhsa_kernarg_size 280
		.amdhsa_user_sgpr_count 2
		.amdhsa_user_sgpr_dispatch_ptr 0
		.amdhsa_user_sgpr_queue_ptr 0
		.amdhsa_user_sgpr_kernarg_segment_ptr 1
		.amdhsa_user_sgpr_dispatch_id 0
		.amdhsa_user_sgpr_kernarg_preload_length 0
		.amdhsa_user_sgpr_kernarg_preload_offset 0
		.amdhsa_user_sgpr_private_segment_size 0
		.amdhsa_uses_dynamic_stack 0
		.amdhsa_enable_private_segment 0
		.amdhsa_system_sgpr_workgroup_id_x 1
		.amdhsa_system_sgpr_workgroup_id_y 1
		.amdhsa_system_sgpr_workgroup_id_z 0
		.amdhsa_system_sgpr_workgroup_info 0
		.amdhsa_system_vgpr_workitem_id 1
		.amdhsa_next_free_vgpr 10
		.amdhsa_next_free_sgpr 13
		.amdhsa_accum_offset 12
		.amdhsa_reserve_vcc 1
		.amdhsa_float_round_mode_32 0
		.amdhsa_float_round_mode_16_64 0
		.amdhsa_float_denorm_mode_32 3
		.amdhsa_float_denorm_mode_16_64 3
		.amdhsa_dx10_clamp 1
		.amdhsa_ieee_mode 1
		.amdhsa_fp16_overflow 0
		.amdhsa_tg_split 0
		.amdhsa_exception_fp_ieee_invalid_op 0
		.amdhsa_exception_fp_denorm_src 0
		.amdhsa_exception_fp_ieee_div_zero 0
		.amdhsa_exception_fp_ieee_overflow 0
		.amdhsa_exception_fp_ieee_underflow 0
		.amdhsa_exception_fp_ieee_inexact 0
		.amdhsa_exception_int_div_zero 0
	.end_amdhsa_kernel
	.section	.text._Z14transposeNaiveIdEvPT_PKS0_m,"axG",@progbits,_Z14transposeNaiveIdEvPT_PKS0_m,comdat
.Lfunc_end6:
	.size	_Z14transposeNaiveIdEvPT_PKS0_m, .Lfunc_end6-_Z14transposeNaiveIdEvPT_PKS0_m
                                        ; -- End function
	.set _Z14transposeNaiveIdEvPT_PKS0_m.num_vgpr, 10
	.set _Z14transposeNaiveIdEvPT_PKS0_m.num_agpr, 0
	.set _Z14transposeNaiveIdEvPT_PKS0_m.numbered_sgpr, 13
	.set _Z14transposeNaiveIdEvPT_PKS0_m.num_named_barrier, 0
	.set _Z14transposeNaiveIdEvPT_PKS0_m.private_seg_size, 0
	.set _Z14transposeNaiveIdEvPT_PKS0_m.uses_vcc, 1
	.set _Z14transposeNaiveIdEvPT_PKS0_m.uses_flat_scratch, 0
	.set _Z14transposeNaiveIdEvPT_PKS0_m.has_dyn_sized_stack, 0
	.set _Z14transposeNaiveIdEvPT_PKS0_m.has_recursion, 0
	.set _Z14transposeNaiveIdEvPT_PKS0_m.has_indirect_call, 0
	.section	.AMDGPU.csdata,"",@progbits
; Kernel info:
; codeLenInByte = 308
; TotalNumSgprs: 19
; NumVgprs: 10
; NumAgprs: 0
; TotalNumVgprs: 10
; ScratchSize: 0
; MemoryBound: 0
; FloatMode: 240
; IeeeMode: 1
; LDSByteSize: 0 bytes/workgroup (compile time only)
; SGPRBlocks: 2
; VGPRBlocks: 1
; NumSGPRsForWavesPerEU: 19
; NumVGPRsForWavesPerEU: 10
; AccumOffset: 12
; Occupancy: 8
; WaveLimiterHint : 0
; COMPUTE_PGM_RSRC2:SCRATCH_EN: 0
; COMPUTE_PGM_RSRC2:USER_SGPR: 2
; COMPUTE_PGM_RSRC2:TRAP_HANDLER: 0
; COMPUTE_PGM_RSRC2:TGID_X_EN: 1
; COMPUTE_PGM_RSRC2:TGID_Y_EN: 1
; COMPUTE_PGM_RSRC2:TGID_Z_EN: 0
; COMPUTE_PGM_RSRC2:TIDIG_COMP_CNT: 1
; COMPUTE_PGM_RSRC3_GFX90A:ACCUM_OFFSET: 2
; COMPUTE_PGM_RSRC3_GFX90A:TG_SPLIT: 0
	.section	.text._Z27transposeLdsNoBankConflictsIdEvPT_PKS0_m,"axG",@progbits,_Z27transposeLdsNoBankConflictsIdEvPT_PKS0_m,comdat
	.protected	_Z27transposeLdsNoBankConflictsIdEvPT_PKS0_m ; -- Begin function _Z27transposeLdsNoBankConflictsIdEvPT_PKS0_m
	.globl	_Z27transposeLdsNoBankConflictsIdEvPT_PKS0_m
	.p2align	8
	.type	_Z27transposeLdsNoBankConflictsIdEvPT_PKS0_m,@function
_Z27transposeLdsNoBankConflictsIdEvPT_PKS0_m: ; @_Z27transposeLdsNoBankConflictsIdEvPT_PKS0_m
; %bb.0:
	s_load_dwordx4 s[4:7], s[0:1], 0x0
	s_load_dwordx2 s[8:9], s[0:1], 0x10
	s_load_dword s11, s[0:1], 0x24
	s_lshl_b32 s10, s3, 6
	v_bfe_u32 v3, v0, 10, 10
	v_add_u32_e32 v9, s10, v3
	v_and_b32_e32 v2, 0x3ff, v0
	s_waitcnt lgkmcnt(0)
	v_mad_u64_u32 v[0:1], s[0:1], s8, v9, 0
	v_mov_b32_e32 v8, v1
	v_mad_u64_u32 v[8:9], s[0:1], s9, v9, v[8:9]
	v_mov_b32_e32 v4, s6
	v_mov_b32_e32 v5, s7
	;; [unrolled: 1-line block ×3, first 2 shown]
	v_lshl_add_u64 v[0:1], v[0:1], 3, v[4:5]
	v_lshlrev_b32_e32 v4, 3, v2
	s_movk_i32 s0, 0x208
	s_lshr_b32 s6, s11, 16
	s_lshl_b32 s7, s2, 6
	v_mad_u32_u24 v4, v3, s0, v4
	s_mul_i32 s0, s9, s6
	s_mul_hi_u32 s1, s8, s6
	v_add_u32_e32 v6, s7, v2
	v_mov_b32_e32 v7, 0
	s_add_i32 s1, s1, s0
	s_mul_i32 s0, s8, s6
	v_lshl_add_u64 v[0:1], v[6:7], 3, v[0:1]
	s_lshl_b64 s[0:1], s[0:1], 3
	s_mul_i32 s11, s6, 0x208
	s_mov_b64 s[2:3], 0
.LBB7_1:                                ; =>This Inner Loop Header: Depth=1
	global_load_dwordx2 v[6:7], v[0:1], off
	s_add_u32 s2, s2, s6
	s_addc_u32 s3, s3, 0
	v_cmp_gt_u64_e64 s[12:13], s[2:3], 63
	v_lshl_add_u64 v[0:1], v[0:1], 0, s[0:1]
	s_and_b64 vcc, exec, s[12:13]
	s_waitcnt vmcnt(0)
	ds_write_b64 v4, v[6:7]
	v_add_u32_e32 v4, s11, v4
	s_cbranch_vccz .LBB7_1
; %bb.2:
	v_add_u32_e32 v9, s7, v3
	v_mad_u64_u32 v[6:7], s[2:3], s8, v9, 0
	v_mov_b32_e32 v8, v7
	v_mad_u64_u32 v[8:9], s[2:3], s9, v9, v[8:9]
	v_mov_b32_e32 v0, s4
	v_mov_b32_e32 v1, s5
	;; [unrolled: 1-line block ×3, first 2 shown]
	v_add_u32_e32 v4, s10, v2
	v_mov_b32_e32 v5, 0
	v_lshlrev_b32_e32 v3, 3, v3
	s_movk_i32 s2, 0x208
	v_lshl_add_u64 v[0:1], v[6:7], 3, v[0:1]
	v_mad_u32_u24 v2, v2, s2, v3
	v_lshl_add_u64 v[0:1], v[4:5], 3, v[0:1]
	s_lshl_b32 s4, s6, 3
	s_mov_b64 s[2:3], 0
	s_waitcnt lgkmcnt(0)
	s_barrier
.LBB7_3:                                ; =>This Inner Loop Header: Depth=1
	ds_read_b64 v[4:5], v2
	s_add_u32 s2, s2, s6
	s_addc_u32 s3, s3, 0
	v_cmp_gt_u64_e64 s[8:9], s[2:3], 63
	v_add_u32_e32 v2, s4, v2
	s_and_b64 vcc, exec, s[8:9]
	s_waitcnt lgkmcnt(0)
	global_store_dwordx2 v[0:1], v[4:5], off
	v_lshl_add_u64 v[0:1], v[0:1], 0, s[0:1]
	s_cbranch_vccz .LBB7_3
; %bb.4:
	s_endpgm
	.section	.rodata,"a",@progbits
	.p2align	6, 0x0
	.amdhsa_kernel _Z27transposeLdsNoBankConflictsIdEvPT_PKS0_m
		.amdhsa_group_segment_fixed_size 33280
		.amdhsa_private_segment_fixed_size 0
		.amdhsa_kernarg_size 280
		.amdhsa_user_sgpr_count 2
		.amdhsa_user_sgpr_dispatch_ptr 0
		.amdhsa_user_sgpr_queue_ptr 0
		.amdhsa_user_sgpr_kernarg_segment_ptr 1
		.amdhsa_user_sgpr_dispatch_id 0
		.amdhsa_user_sgpr_kernarg_preload_length 0
		.amdhsa_user_sgpr_kernarg_preload_offset 0
		.amdhsa_user_sgpr_private_segment_size 0
		.amdhsa_uses_dynamic_stack 0
		.amdhsa_enable_private_segment 0
		.amdhsa_system_sgpr_workgroup_id_x 1
		.amdhsa_system_sgpr_workgroup_id_y 1
		.amdhsa_system_sgpr_workgroup_id_z 0
		.amdhsa_system_sgpr_workgroup_info 0
		.amdhsa_system_vgpr_workitem_id 1
		.amdhsa_next_free_vgpr 10
		.amdhsa_next_free_sgpr 14
		.amdhsa_accum_offset 12
		.amdhsa_reserve_vcc 1
		.amdhsa_float_round_mode_32 0
		.amdhsa_float_round_mode_16_64 0
		.amdhsa_float_denorm_mode_32 3
		.amdhsa_float_denorm_mode_16_64 3
		.amdhsa_dx10_clamp 1
		.amdhsa_ieee_mode 1
		.amdhsa_fp16_overflow 0
		.amdhsa_tg_split 0
		.amdhsa_exception_fp_ieee_invalid_op 0
		.amdhsa_exception_fp_denorm_src 0
		.amdhsa_exception_fp_ieee_div_zero 0
		.amdhsa_exception_fp_ieee_overflow 0
		.amdhsa_exception_fp_ieee_underflow 0
		.amdhsa_exception_fp_ieee_inexact 0
		.amdhsa_exception_int_div_zero 0
	.end_amdhsa_kernel
	.section	.text._Z27transposeLdsNoBankConflictsIdEvPT_PKS0_m,"axG",@progbits,_Z27transposeLdsNoBankConflictsIdEvPT_PKS0_m,comdat
.Lfunc_end7:
	.size	_Z27transposeLdsNoBankConflictsIdEvPT_PKS0_m, .Lfunc_end7-_Z27transposeLdsNoBankConflictsIdEvPT_PKS0_m
                                        ; -- End function
	.set _Z27transposeLdsNoBankConflictsIdEvPT_PKS0_m.num_vgpr, 10
	.set _Z27transposeLdsNoBankConflictsIdEvPT_PKS0_m.num_agpr, 0
	.set _Z27transposeLdsNoBankConflictsIdEvPT_PKS0_m.numbered_sgpr, 14
	.set _Z27transposeLdsNoBankConflictsIdEvPT_PKS0_m.num_named_barrier, 0
	.set _Z27transposeLdsNoBankConflictsIdEvPT_PKS0_m.private_seg_size, 0
	.set _Z27transposeLdsNoBankConflictsIdEvPT_PKS0_m.uses_vcc, 1
	.set _Z27transposeLdsNoBankConflictsIdEvPT_PKS0_m.uses_flat_scratch, 0
	.set _Z27transposeLdsNoBankConflictsIdEvPT_PKS0_m.has_dyn_sized_stack, 0
	.set _Z27transposeLdsNoBankConflictsIdEvPT_PKS0_m.has_recursion, 0
	.set _Z27transposeLdsNoBankConflictsIdEvPT_PKS0_m.has_indirect_call, 0
	.section	.AMDGPU.csdata,"",@progbits
; Kernel info:
; codeLenInByte = 372
; TotalNumSgprs: 20
; NumVgprs: 10
; NumAgprs: 0
; TotalNumVgprs: 10
; ScratchSize: 0
; MemoryBound: 0
; FloatMode: 240
; IeeeMode: 1
; LDSByteSize: 33280 bytes/workgroup (compile time only)
; SGPRBlocks: 2
; VGPRBlocks: 1
; NumSGPRsForWavesPerEU: 20
; NumVGPRsForWavesPerEU: 10
; AccumOffset: 12
; Occupancy: 8
; WaveLimiterHint : 0
; COMPUTE_PGM_RSRC2:SCRATCH_EN: 0
; COMPUTE_PGM_RSRC2:USER_SGPR: 2
; COMPUTE_PGM_RSRC2:TRAP_HANDLER: 0
; COMPUTE_PGM_RSRC2:TGID_X_EN: 1
; COMPUTE_PGM_RSRC2:TGID_Y_EN: 1
; COMPUTE_PGM_RSRC2:TGID_Z_EN: 0
; COMPUTE_PGM_RSRC2:TIDIG_COMP_CNT: 1
; COMPUTE_PGM_RSRC3_GFX90A:ACCUM_OFFSET: 2
; COMPUTE_PGM_RSRC3_GFX90A:TG_SPLIT: 0
	.section	.text._Z23transposeLdsSwapInplaceIdEvPT_PKS0_m,"axG",@progbits,_Z23transposeLdsSwapInplaceIdEvPT_PKS0_m,comdat
	.protected	_Z23transposeLdsSwapInplaceIdEvPT_PKS0_m ; -- Begin function _Z23transposeLdsSwapInplaceIdEvPT_PKS0_m
	.globl	_Z23transposeLdsSwapInplaceIdEvPT_PKS0_m
	.p2align	8
	.type	_Z23transposeLdsSwapInplaceIdEvPT_PKS0_m,@function
_Z23transposeLdsSwapInplaceIdEvPT_PKS0_m: ; @_Z23transposeLdsSwapInplaceIdEvPT_PKS0_m
; %bb.0:
	s_load_dwordx4 s[8:11], s[0:1], 0x0
	s_load_dwordx2 s[6:7], s[0:1], 0x10
	v_and_b32_e32 v2, 0x3ff, v0
	v_bfe_u32 v0, v0, 10, 10
	s_lshl_b32 s2, s2, 6
	v_mov_b32_e32 v1, 0
	v_cmp_gt_u32_e32 vcc, 64, v0
	v_lshlrev_b32_e32 v8, 3, v2
	s_and_saveexec_b64 s[12:13], vcc
	s_cbranch_execz .LBB8_3
; %bb.1:
	s_load_dword s14, s[0:1], 0x24
	s_mov_b32 s5, 0
	s_lshl_b32 s4, s3, 6
	v_lshl_add_u64 v[6:7], v[0:1], 0, s[4:5]
	v_add_u32_e32 v4, s2, v2
	v_mov_b32_e32 v5, v1
	s_waitcnt lgkmcnt(0)
	s_lshr_b32 s14, s14, 16
	s_mov_b32 s15, s5
	v_mul_lo_u32 v9, s7, v6
	v_mul_lo_u32 v10, s6, v7
	v_mad_u64_u32 v[6:7], s[4:5], s6, v6, 0
	v_add3_u32 v7, v7, v10, v9
	v_lshlrev_b64 v[4:5], 3, v[4:5]
	s_mul_i32 s4, s7, s14
	s_mul_hi_u32 s5, s6, s14
	v_lshl_add_u64 v[4:5], v[6:7], 3, v[4:5]
	s_add_i32 s5, s5, s4
	s_mul_i32 s4, s6, s14
	v_lshl_add_u32 v3, v0, 9, v8
	s_lshl_b32 s18, s14, 9
	v_lshl_add_u64 v[4:5], s[10:11], 0, v[4:5]
	s_lshl_b64 s[10:11], s[4:5], 3
	s_mov_b64 s[16:17], 0
	v_mov_b64_e32 v[6:7], v[0:1]
.LBB8_2:                                ; =>This Inner Loop Header: Depth=1
	global_load_dwordx2 v[10:11], v[4:5], off
	v_lshl_add_u64 v[6:7], v[6:7], 0, s[14:15]
	v_cmp_lt_u64_e64 s[4:5], 63, v[6:7]
	v_lshl_add_u64 v[4:5], v[4:5], 0, s[10:11]
	s_or_b64 s[16:17], s[4:5], s[16:17]
	s_waitcnt vmcnt(0)
	ds_write_b64 v3, v[10:11]
	v_add_u32_e32 v3, s18, v3
	s_andn2_b64 exec, exec, s[16:17]
	s_cbranch_execnz .LBB8_2
.LBB8_3:
	s_or_b64 exec, exec, s[12:13]
	s_waitcnt lgkmcnt(0)
	s_barrier
	s_and_saveexec_b64 s[10:11], vcc
	s_cbranch_execz .LBB8_8
; %bb.4:
	s_load_dword s4, s[0:1], 0x24
	v_mul_u32_u24_e32 v4, 0x1f8, v2
	v_lshlrev_b32_e32 v5, 3, v0
	s_mov_b32 s13, 0
	v_mov_b32_e32 v3, 0
	s_waitcnt lgkmcnt(0)
	s_lshr_b32 s12, s4, 16
	v_lshl_add_u32 v6, v0, 9, v8
	s_lshl_b32 s18, s12, 9
	v_add3_u32 v7, v4, v8, v5
	s_lshl_b32 s19, s12, 3
	s_mov_b64 s[14:15], 0
	v_mov_b64_e32 v[4:5], v[0:1]
	s_branch .LBB8_6
.LBB8_5:                                ;   in Loop: Header=BB8_6 Depth=1
	s_or_b64 exec, exec, s[16:17]
	v_lshl_add_u64 v[4:5], v[4:5], 0, s[12:13]
	v_cmp_lt_u64_e64 s[4:5], 63, v[4:5]
	v_add_u32_e32 v6, s18, v6
	s_or_b64 s[14:15], s[4:5], s[14:15]
	v_add_u32_e32 v7, s19, v7
	s_andn2_b64 exec, exec, s[14:15]
	s_cbranch_execz .LBB8_8
.LBB8_6:                                ; =>This Inner Loop Header: Depth=1
	v_cmp_lt_u64_e64 s[4:5], v[4:5], v[2:3]
	s_and_saveexec_b64 s[16:17], s[4:5]
	s_cbranch_execz .LBB8_5
; %bb.7:                                ;   in Loop: Header=BB8_6 Depth=1
	ds_read_b64 v[10:11], v7
	ds_read_b64 v[12:13], v6
	s_waitcnt lgkmcnt(1)
	ds_write_b64 v6, v[10:11]
	s_waitcnt lgkmcnt(1)
	ds_write_b64 v7, v[12:13]
	s_branch .LBB8_5
.LBB8_8:
	s_or_b64 exec, exec, s[10:11]
	s_waitcnt lgkmcnt(0)
	s_barrier
	s_and_saveexec_b64 s[4:5], vcc
	s_cbranch_execz .LBB8_11
; %bb.9:
	s_load_dword s0, s[0:1], 0x24
	v_lshl_add_u32 v2, s3, 6, v2
	s_mov_b32 s3, 0
	v_lshl_add_u64 v[6:7], v[0:1], 0, s[2:3]
	v_mov_b32_e32 v3, 0
	s_mov_b32 s1, s3
	s_waitcnt lgkmcnt(0)
	s_lshr_b32 s0, s0, 16
	v_lshl_add_u32 v4, v0, 9, v8
	v_mul_lo_u32 v5, s7, v6
	v_mul_lo_u32 v8, s6, v7
	v_mad_u64_u32 v[6:7], s[2:3], s6, v6, 0
	v_add3_u32 v7, v7, v8, v5
	v_lshlrev_b64 v[2:3], 3, v[2:3]
	s_mul_i32 s2, s7, s0
	s_mul_hi_u32 s3, s6, s0
	v_lshl_add_u64 v[2:3], v[6:7], 3, v[2:3]
	s_add_i32 s3, s3, s2
	s_mul_i32 s2, s6, s0
	s_lshl_b32 s10, s0, 9
	v_lshl_add_u64 v[2:3], s[8:9], 0, v[2:3]
	s_lshl_b64 s[2:3], s[2:3], 3
	s_mov_b64 s[4:5], 0
.LBB8_10:                               ; =>This Inner Loop Header: Depth=1
	ds_read_b64 v[6:7], v4
	v_lshl_add_u64 v[0:1], v[0:1], 0, s[0:1]
	v_cmp_lt_u64_e32 vcc, 63, v[0:1]
	v_add_u32_e32 v4, s10, v4
	s_or_b64 s[4:5], vcc, s[4:5]
	s_waitcnt lgkmcnt(0)
	global_store_dwordx2 v[2:3], v[6:7], off
	v_lshl_add_u64 v[2:3], v[2:3], 0, s[2:3]
	s_andn2_b64 exec, exec, s[4:5]
	s_cbranch_execnz .LBB8_10
.LBB8_11:
	s_endpgm
	.section	.rodata,"a",@progbits
	.p2align	6, 0x0
	.amdhsa_kernel _Z23transposeLdsSwapInplaceIdEvPT_PKS0_m
		.amdhsa_group_segment_fixed_size 32768
		.amdhsa_private_segment_fixed_size 0
		.amdhsa_kernarg_size 280
		.amdhsa_user_sgpr_count 2
		.amdhsa_user_sgpr_dispatch_ptr 0
		.amdhsa_user_sgpr_queue_ptr 0
		.amdhsa_user_sgpr_kernarg_segment_ptr 1
		.amdhsa_user_sgpr_dispatch_id 0
		.amdhsa_user_sgpr_kernarg_preload_length 0
		.amdhsa_user_sgpr_kernarg_preload_offset 0
		.amdhsa_user_sgpr_private_segment_size 0
		.amdhsa_uses_dynamic_stack 0
		.amdhsa_enable_private_segment 0
		.amdhsa_system_sgpr_workgroup_id_x 1
		.amdhsa_system_sgpr_workgroup_id_y 1
		.amdhsa_system_sgpr_workgroup_id_z 0
		.amdhsa_system_sgpr_workgroup_info 0
		.amdhsa_system_vgpr_workitem_id 1
		.amdhsa_next_free_vgpr 14
		.amdhsa_next_free_sgpr 20
		.amdhsa_accum_offset 16
		.amdhsa_reserve_vcc 1
		.amdhsa_float_round_mode_32 0
		.amdhsa_float_round_mode_16_64 0
		.amdhsa_float_denorm_mode_32 3
		.amdhsa_float_denorm_mode_16_64 3
		.amdhsa_dx10_clamp 1
		.amdhsa_ieee_mode 1
		.amdhsa_fp16_overflow 0
		.amdhsa_tg_split 0
		.amdhsa_exception_fp_ieee_invalid_op 0
		.amdhsa_exception_fp_denorm_src 0
		.amdhsa_exception_fp_ieee_div_zero 0
		.amdhsa_exception_fp_ieee_overflow 0
		.amdhsa_exception_fp_ieee_underflow 0
		.amdhsa_exception_fp_ieee_inexact 0
		.amdhsa_exception_int_div_zero 0
	.end_amdhsa_kernel
	.section	.text._Z23transposeLdsSwapInplaceIdEvPT_PKS0_m,"axG",@progbits,_Z23transposeLdsSwapInplaceIdEvPT_PKS0_m,comdat
.Lfunc_end8:
	.size	_Z23transposeLdsSwapInplaceIdEvPT_PKS0_m, .Lfunc_end8-_Z23transposeLdsSwapInplaceIdEvPT_PKS0_m
                                        ; -- End function
	.set _Z23transposeLdsSwapInplaceIdEvPT_PKS0_m.num_vgpr, 14
	.set _Z23transposeLdsSwapInplaceIdEvPT_PKS0_m.num_agpr, 0
	.set _Z23transposeLdsSwapInplaceIdEvPT_PKS0_m.numbered_sgpr, 20
	.set _Z23transposeLdsSwapInplaceIdEvPT_PKS0_m.num_named_barrier, 0
	.set _Z23transposeLdsSwapInplaceIdEvPT_PKS0_m.private_seg_size, 0
	.set _Z23transposeLdsSwapInplaceIdEvPT_PKS0_m.uses_vcc, 1
	.set _Z23transposeLdsSwapInplaceIdEvPT_PKS0_m.uses_flat_scratch, 0
	.set _Z23transposeLdsSwapInplaceIdEvPT_PKS0_m.has_dyn_sized_stack, 0
	.set _Z23transposeLdsSwapInplaceIdEvPT_PKS0_m.has_recursion, 0
	.set _Z23transposeLdsSwapInplaceIdEvPT_PKS0_m.has_indirect_call, 0
	.section	.AMDGPU.csdata,"",@progbits
; Kernel info:
; codeLenInByte = 664
; TotalNumSgprs: 26
; NumVgprs: 14
; NumAgprs: 0
; TotalNumVgprs: 14
; ScratchSize: 0
; MemoryBound: 0
; FloatMode: 240
; IeeeMode: 1
; LDSByteSize: 32768 bytes/workgroup (compile time only)
; SGPRBlocks: 3
; VGPRBlocks: 1
; NumSGPRsForWavesPerEU: 26
; NumVGPRsForWavesPerEU: 14
; AccumOffset: 16
; Occupancy: 8
; WaveLimiterHint : 0
; COMPUTE_PGM_RSRC2:SCRATCH_EN: 0
; COMPUTE_PGM_RSRC2:USER_SGPR: 2
; COMPUTE_PGM_RSRC2:TRAP_HANDLER: 0
; COMPUTE_PGM_RSRC2:TGID_X_EN: 1
; COMPUTE_PGM_RSRC2:TGID_Y_EN: 1
; COMPUTE_PGM_RSRC2:TGID_Z_EN: 0
; COMPUTE_PGM_RSRC2:TIDIG_COMP_CNT: 1
; COMPUTE_PGM_RSRC3_GFX90A:ACCUM_OFFSET: 3
; COMPUTE_PGM_RSRC3_GFX90A:TG_SPLIT: 0
	.section	.AMDGPU.gpr_maximums,"",@progbits
	.set amdgpu.max_num_vgpr, 0
	.set amdgpu.max_num_agpr, 0
	.set amdgpu.max_num_sgpr, 0
	.section	.AMDGPU.csdata,"",@progbits
	.type	__hip_cuid_dc5dfa905ad0b3b8,@object ; @__hip_cuid_dc5dfa905ad0b3b8
	.section	.bss,"aw",@nobits
	.globl	__hip_cuid_dc5dfa905ad0b3b8
__hip_cuid_dc5dfa905ad0b3b8:
	.byte	0                               ; 0x0
	.size	__hip_cuid_dc5dfa905ad0b3b8, 1

	.ident	"AMD clang version 22.0.0git (https://github.com/RadeonOpenCompute/llvm-project roc-7.2.4 26084 f58b06dce1f9c15707c5f808fd002e18c2accf7e)"
	.section	".note.GNU-stack","",@progbits
	.addrsig
	.addrsig_sym __hip_cuid_dc5dfa905ad0b3b8
	.amdgpu_metadata
---
amdhsa.kernels:
  - .agpr_count:     0
    .args:
      - .address_space:  global
        .offset:         0
        .size:           8
        .value_kind:     global_buffer
      - .address_space:  global
        .offset:         8
        .size:           8
        .value_kind:     global_buffer
      - .offset:         16
        .size:           8
        .value_kind:     by_value
      - .offset:         24
        .size:           4
        .value_kind:     hidden_block_count_x
      - .offset:         28
        .size:           4
        .value_kind:     hidden_block_count_y
      - .offset:         32
        .size:           4
        .value_kind:     hidden_block_count_z
      - .offset:         36
        .size:           2
        .value_kind:     hidden_group_size_x
      - .offset:         38
        .size:           2
        .value_kind:     hidden_group_size_y
      - .offset:         40
        .size:           2
        .value_kind:     hidden_group_size_z
      - .offset:         42
        .size:           2
        .value_kind:     hidden_remainder_x
      - .offset:         44
        .size:           2
        .value_kind:     hidden_remainder_y
      - .offset:         46
        .size:           2
        .value_kind:     hidden_remainder_z
      - .offset:         64
        .size:           8
        .value_kind:     hidden_global_offset_x
      - .offset:         72
        .size:           8
        .value_kind:     hidden_global_offset_y
      - .offset:         80
        .size:           8
        .value_kind:     hidden_global_offset_z
      - .offset:         88
        .size:           2
        .value_kind:     hidden_grid_dims
    .group_segment_fixed_size: 0
    .kernarg_segment_align: 8
    .kernarg_segment_size: 280
    .language:       OpenCL C
    .language_version:
      - 2
      - 0
    .max_flat_workgroup_size: 1024
    .name:           _Z14transposeNaiveIiEvPT_PKS0_m
    .private_segment_fixed_size: 0
    .sgpr_count:     19
    .sgpr_spill_count: 0
    .symbol:         _Z14transposeNaiveIiEvPT_PKS0_m.kd
    .uniform_work_group_size: 1
    .uses_dynamic_stack: false
    .vgpr_count:     10
    .vgpr_spill_count: 0
    .wavefront_size: 64
  - .agpr_count:     0
    .args:
      - .address_space:  global
        .offset:         0
        .size:           8
        .value_kind:     global_buffer
      - .address_space:  global
        .offset:         8
        .size:           8
        .value_kind:     global_buffer
      - .offset:         16
        .size:           8
        .value_kind:     by_value
      - .offset:         24
        .size:           4
        .value_kind:     hidden_block_count_x
      - .offset:         28
        .size:           4
        .value_kind:     hidden_block_count_y
      - .offset:         32
        .size:           4
        .value_kind:     hidden_block_count_z
      - .offset:         36
        .size:           2
        .value_kind:     hidden_group_size_x
      - .offset:         38
        .size:           2
        .value_kind:     hidden_group_size_y
      - .offset:         40
        .size:           2
        .value_kind:     hidden_group_size_z
      - .offset:         42
        .size:           2
        .value_kind:     hidden_remainder_x
      - .offset:         44
        .size:           2
        .value_kind:     hidden_remainder_y
      - .offset:         46
        .size:           2
        .value_kind:     hidden_remainder_z
      - .offset:         64
        .size:           8
        .value_kind:     hidden_global_offset_x
      - .offset:         72
        .size:           8
        .value_kind:     hidden_global_offset_y
      - .offset:         80
        .size:           8
        .value_kind:     hidden_global_offset_z
      - .offset:         88
        .size:           2
        .value_kind:     hidden_grid_dims
    .group_segment_fixed_size: 16640
    .kernarg_segment_align: 8
    .kernarg_segment_size: 280
    .language:       OpenCL C
    .language_version:
      - 2
      - 0
    .max_flat_workgroup_size: 1024
    .name:           _Z27transposeLdsNoBankConflictsIiEvPT_PKS0_m
    .private_segment_fixed_size: 0
    .sgpr_count:     36
    .sgpr_spill_count: 0
    .symbol:         _Z27transposeLdsNoBankConflictsIiEvPT_PKS0_m.kd
    .uniform_work_group_size: 1
    .uses_dynamic_stack: false
    .vgpr_count:     13
    .vgpr_spill_count: 0
    .wavefront_size: 64
  - .agpr_count:     0
    .args:
      - .address_space:  global
        .offset:         0
        .size:           8
        .value_kind:     global_buffer
      - .address_space:  global
        .offset:         8
        .size:           8
        .value_kind:     global_buffer
      - .offset:         16
        .size:           8
        .value_kind:     by_value
      - .offset:         24
        .size:           4
        .value_kind:     hidden_block_count_x
      - .offset:         28
        .size:           4
        .value_kind:     hidden_block_count_y
      - .offset:         32
        .size:           4
        .value_kind:     hidden_block_count_z
      - .offset:         36
        .size:           2
        .value_kind:     hidden_group_size_x
      - .offset:         38
        .size:           2
        .value_kind:     hidden_group_size_y
      - .offset:         40
        .size:           2
        .value_kind:     hidden_group_size_z
      - .offset:         42
        .size:           2
        .value_kind:     hidden_remainder_x
      - .offset:         44
        .size:           2
        .value_kind:     hidden_remainder_y
      - .offset:         46
        .size:           2
        .value_kind:     hidden_remainder_z
      - .offset:         64
        .size:           8
        .value_kind:     hidden_global_offset_x
      - .offset:         72
        .size:           8
        .value_kind:     hidden_global_offset_y
      - .offset:         80
        .size:           8
        .value_kind:     hidden_global_offset_z
      - .offset:         88
        .size:           2
        .value_kind:     hidden_grid_dims
    .group_segment_fixed_size: 16384
    .kernarg_segment_align: 8
    .kernarg_segment_size: 280
    .language:       OpenCL C
    .language_version:
      - 2
      - 0
    .max_flat_workgroup_size: 1024
    .name:           _Z23transposeLdsSwapInplaceIiEvPT_PKS0_m
    .private_segment_fixed_size: 0
    .sgpr_count:     31
    .sgpr_spill_count: 0
    .symbol:         _Z23transposeLdsSwapInplaceIiEvPT_PKS0_m.kd
    .uniform_work_group_size: 1
    .uses_dynamic_stack: false
    .vgpr_count:     26
    .vgpr_spill_count: 0
    .wavefront_size: 64
  - .agpr_count:     0
    .args:
      - .address_space:  global
        .offset:         0
        .size:           8
        .value_kind:     global_buffer
      - .address_space:  global
        .offset:         8
        .size:           8
        .value_kind:     global_buffer
      - .offset:         16
        .size:           8
        .value_kind:     by_value
      - .offset:         24
        .size:           4
        .value_kind:     hidden_block_count_x
      - .offset:         28
        .size:           4
        .value_kind:     hidden_block_count_y
      - .offset:         32
        .size:           4
        .value_kind:     hidden_block_count_z
      - .offset:         36
        .size:           2
        .value_kind:     hidden_group_size_x
      - .offset:         38
        .size:           2
        .value_kind:     hidden_group_size_y
      - .offset:         40
        .size:           2
        .value_kind:     hidden_group_size_z
      - .offset:         42
        .size:           2
        .value_kind:     hidden_remainder_x
      - .offset:         44
        .size:           2
        .value_kind:     hidden_remainder_y
      - .offset:         46
        .size:           2
        .value_kind:     hidden_remainder_z
      - .offset:         64
        .size:           8
        .value_kind:     hidden_global_offset_x
      - .offset:         72
        .size:           8
        .value_kind:     hidden_global_offset_y
      - .offset:         80
        .size:           8
        .value_kind:     hidden_global_offset_z
      - .offset:         88
        .size:           2
        .value_kind:     hidden_grid_dims
    .group_segment_fixed_size: 0
    .kernarg_segment_align: 8
    .kernarg_segment_size: 280
    .language:       OpenCL C
    .language_version:
      - 2
      - 0
    .max_flat_workgroup_size: 1024
    .name:           _Z14transposeNaiveIfEvPT_PKS0_m
    .private_segment_fixed_size: 0
    .sgpr_count:     19
    .sgpr_spill_count: 0
    .symbol:         _Z14transposeNaiveIfEvPT_PKS0_m.kd
    .uniform_work_group_size: 1
    .uses_dynamic_stack: false
    .vgpr_count:     10
    .vgpr_spill_count: 0
    .wavefront_size: 64
  - .agpr_count:     0
    .args:
      - .address_space:  global
        .offset:         0
        .size:           8
        .value_kind:     global_buffer
      - .address_space:  global
        .offset:         8
        .size:           8
        .value_kind:     global_buffer
      - .offset:         16
        .size:           8
        .value_kind:     by_value
      - .offset:         24
        .size:           4
        .value_kind:     hidden_block_count_x
      - .offset:         28
        .size:           4
        .value_kind:     hidden_block_count_y
      - .offset:         32
        .size:           4
        .value_kind:     hidden_block_count_z
      - .offset:         36
        .size:           2
        .value_kind:     hidden_group_size_x
      - .offset:         38
        .size:           2
        .value_kind:     hidden_group_size_y
      - .offset:         40
        .size:           2
        .value_kind:     hidden_group_size_z
      - .offset:         42
        .size:           2
        .value_kind:     hidden_remainder_x
      - .offset:         44
        .size:           2
        .value_kind:     hidden_remainder_y
      - .offset:         46
        .size:           2
        .value_kind:     hidden_remainder_z
      - .offset:         64
        .size:           8
        .value_kind:     hidden_global_offset_x
      - .offset:         72
        .size:           8
        .value_kind:     hidden_global_offset_y
      - .offset:         80
        .size:           8
        .value_kind:     hidden_global_offset_z
      - .offset:         88
        .size:           2
        .value_kind:     hidden_grid_dims
    .group_segment_fixed_size: 16640
    .kernarg_segment_align: 8
    .kernarg_segment_size: 280
    .language:       OpenCL C
    .language_version:
      - 2
      - 0
    .max_flat_workgroup_size: 1024
    .name:           _Z27transposeLdsNoBankConflictsIfEvPT_PKS0_m
    .private_segment_fixed_size: 0
    .sgpr_count:     36
    .sgpr_spill_count: 0
    .symbol:         _Z27transposeLdsNoBankConflictsIfEvPT_PKS0_m.kd
    .uniform_work_group_size: 1
    .uses_dynamic_stack: false
    .vgpr_count:     13
    .vgpr_spill_count: 0
    .wavefront_size: 64
  - .agpr_count:     0
    .args:
      - .address_space:  global
        .offset:         0
        .size:           8
        .value_kind:     global_buffer
      - .address_space:  global
        .offset:         8
        .size:           8
        .value_kind:     global_buffer
      - .offset:         16
        .size:           8
        .value_kind:     by_value
      - .offset:         24
        .size:           4
        .value_kind:     hidden_block_count_x
      - .offset:         28
        .size:           4
        .value_kind:     hidden_block_count_y
      - .offset:         32
        .size:           4
        .value_kind:     hidden_block_count_z
      - .offset:         36
        .size:           2
        .value_kind:     hidden_group_size_x
      - .offset:         38
        .size:           2
        .value_kind:     hidden_group_size_y
      - .offset:         40
        .size:           2
        .value_kind:     hidden_group_size_z
      - .offset:         42
        .size:           2
        .value_kind:     hidden_remainder_x
      - .offset:         44
        .size:           2
        .value_kind:     hidden_remainder_y
      - .offset:         46
        .size:           2
        .value_kind:     hidden_remainder_z
      - .offset:         64
        .size:           8
        .value_kind:     hidden_global_offset_x
      - .offset:         72
        .size:           8
        .value_kind:     hidden_global_offset_y
      - .offset:         80
        .size:           8
        .value_kind:     hidden_global_offset_z
      - .offset:         88
        .size:           2
        .value_kind:     hidden_grid_dims
    .group_segment_fixed_size: 16384
    .kernarg_segment_align: 8
    .kernarg_segment_size: 280
    .language:       OpenCL C
    .language_version:
      - 2
      - 0
    .max_flat_workgroup_size: 1024
    .name:           _Z23transposeLdsSwapInplaceIfEvPT_PKS0_m
    .private_segment_fixed_size: 0
    .sgpr_count:     31
    .sgpr_spill_count: 0
    .symbol:         _Z23transposeLdsSwapInplaceIfEvPT_PKS0_m.kd
    .uniform_work_group_size: 1
    .uses_dynamic_stack: false
    .vgpr_count:     26
    .vgpr_spill_count: 0
    .wavefront_size: 64
  - .agpr_count:     0
    .args:
      - .address_space:  global
        .offset:         0
        .size:           8
        .value_kind:     global_buffer
      - .address_space:  global
        .offset:         8
        .size:           8
        .value_kind:     global_buffer
      - .offset:         16
        .size:           8
        .value_kind:     by_value
      - .offset:         24
        .size:           4
        .value_kind:     hidden_block_count_x
      - .offset:         28
        .size:           4
        .value_kind:     hidden_block_count_y
      - .offset:         32
        .size:           4
        .value_kind:     hidden_block_count_z
      - .offset:         36
        .size:           2
        .value_kind:     hidden_group_size_x
      - .offset:         38
        .size:           2
        .value_kind:     hidden_group_size_y
      - .offset:         40
        .size:           2
        .value_kind:     hidden_group_size_z
      - .offset:         42
        .size:           2
        .value_kind:     hidden_remainder_x
      - .offset:         44
        .size:           2
        .value_kind:     hidden_remainder_y
      - .offset:         46
        .size:           2
        .value_kind:     hidden_remainder_z
      - .offset:         64
        .size:           8
        .value_kind:     hidden_global_offset_x
      - .offset:         72
        .size:           8
        .value_kind:     hidden_global_offset_y
      - .offset:         80
        .size:           8
        .value_kind:     hidden_global_offset_z
      - .offset:         88
        .size:           2
        .value_kind:     hidden_grid_dims
    .group_segment_fixed_size: 0
    .kernarg_segment_align: 8
    .kernarg_segment_size: 280
    .language:       OpenCL C
    .language_version:
      - 2
      - 0
    .max_flat_workgroup_size: 1024
    .name:           _Z14transposeNaiveIdEvPT_PKS0_m
    .private_segment_fixed_size: 0
    .sgpr_count:     19
    .sgpr_spill_count: 0
    .symbol:         _Z14transposeNaiveIdEvPT_PKS0_m.kd
    .uniform_work_group_size: 1
    .uses_dynamic_stack: false
    .vgpr_count:     10
    .vgpr_spill_count: 0
    .wavefront_size: 64
  - .agpr_count:     0
    .args:
      - .address_space:  global
        .offset:         0
        .size:           8
        .value_kind:     global_buffer
      - .address_space:  global
        .offset:         8
        .size:           8
        .value_kind:     global_buffer
      - .offset:         16
        .size:           8
        .value_kind:     by_value
      - .offset:         24
        .size:           4
        .value_kind:     hidden_block_count_x
      - .offset:         28
        .size:           4
        .value_kind:     hidden_block_count_y
      - .offset:         32
        .size:           4
        .value_kind:     hidden_block_count_z
      - .offset:         36
        .size:           2
        .value_kind:     hidden_group_size_x
      - .offset:         38
        .size:           2
        .value_kind:     hidden_group_size_y
      - .offset:         40
        .size:           2
        .value_kind:     hidden_group_size_z
      - .offset:         42
        .size:           2
        .value_kind:     hidden_remainder_x
      - .offset:         44
        .size:           2
        .value_kind:     hidden_remainder_y
      - .offset:         46
        .size:           2
        .value_kind:     hidden_remainder_z
      - .offset:         64
        .size:           8
        .value_kind:     hidden_global_offset_x
      - .offset:         72
        .size:           8
        .value_kind:     hidden_global_offset_y
      - .offset:         80
        .size:           8
        .value_kind:     hidden_global_offset_z
      - .offset:         88
        .size:           2
        .value_kind:     hidden_grid_dims
    .group_segment_fixed_size: 33280
    .kernarg_segment_align: 8
    .kernarg_segment_size: 280
    .language:       OpenCL C
    .language_version:
      - 2
      - 0
    .max_flat_workgroup_size: 1024
    .name:           _Z27transposeLdsNoBankConflictsIdEvPT_PKS0_m
    .private_segment_fixed_size: 0
    .sgpr_count:     20
    .sgpr_spill_count: 0
    .symbol:         _Z27transposeLdsNoBankConflictsIdEvPT_PKS0_m.kd
    .uniform_work_group_size: 1
    .uses_dynamic_stack: false
    .vgpr_count:     10
    .vgpr_spill_count: 0
    .wavefront_size: 64
  - .agpr_count:     0
    .args:
      - .address_space:  global
        .offset:         0
        .size:           8
        .value_kind:     global_buffer
      - .address_space:  global
        .offset:         8
        .size:           8
        .value_kind:     global_buffer
      - .offset:         16
        .size:           8
        .value_kind:     by_value
      - .offset:         24
        .size:           4
        .value_kind:     hidden_block_count_x
      - .offset:         28
        .size:           4
        .value_kind:     hidden_block_count_y
      - .offset:         32
        .size:           4
        .value_kind:     hidden_block_count_z
      - .offset:         36
        .size:           2
        .value_kind:     hidden_group_size_x
      - .offset:         38
        .size:           2
        .value_kind:     hidden_group_size_y
      - .offset:         40
        .size:           2
        .value_kind:     hidden_group_size_z
      - .offset:         42
        .size:           2
        .value_kind:     hidden_remainder_x
      - .offset:         44
        .size:           2
        .value_kind:     hidden_remainder_y
      - .offset:         46
        .size:           2
        .value_kind:     hidden_remainder_z
      - .offset:         64
        .size:           8
        .value_kind:     hidden_global_offset_x
      - .offset:         72
        .size:           8
        .value_kind:     hidden_global_offset_y
      - .offset:         80
        .size:           8
        .value_kind:     hidden_global_offset_z
      - .offset:         88
        .size:           2
        .value_kind:     hidden_grid_dims
    .group_segment_fixed_size: 32768
    .kernarg_segment_align: 8
    .kernarg_segment_size: 280
    .language:       OpenCL C
    .language_version:
      - 2
      - 0
    .max_flat_workgroup_size: 1024
    .name:           _Z23transposeLdsSwapInplaceIdEvPT_PKS0_m
    .private_segment_fixed_size: 0
    .sgpr_count:     26
    .sgpr_spill_count: 0
    .symbol:         _Z23transposeLdsSwapInplaceIdEvPT_PKS0_m.kd
    .uniform_work_group_size: 1
    .uses_dynamic_stack: false
    .vgpr_count:     14
    .vgpr_spill_count: 0
    .wavefront_size: 64
amdhsa.target:   amdgcn-amd-amdhsa--gfx950
amdhsa.version:
  - 1
  - 2
...

	.end_amdgpu_metadata
